;; amdgpu-corpus repo=ROCm/rocFFT kind=compiled arch=gfx906 opt=O3
	.text
	.amdgcn_target "amdgcn-amd-amdhsa--gfx906"
	.amdhsa_code_object_version 6
	.protected	bluestein_single_back_len2250_dim1_half_op_CI_CI ; -- Begin function bluestein_single_back_len2250_dim1_half_op_CI_CI
	.globl	bluestein_single_back_len2250_dim1_half_op_CI_CI
	.p2align	8
	.type	bluestein_single_back_len2250_dim1_half_op_CI_CI,@function
bluestein_single_back_len2250_dim1_half_op_CI_CI: ; @bluestein_single_back_len2250_dim1_half_op_CI_CI
; %bb.0:
	s_load_dwordx4 s[8:11], s[4:5], 0x28
	v_mul_u32_u24_e32 v1, 0x2d9, v0
	v_add_u32_sdwa v42, s6, v1 dst_sel:DWORD dst_unused:UNUSED_PAD src0_sel:DWORD src1_sel:WORD_1
	v_mov_b32_e32 v43, 0
	s_waitcnt lgkmcnt(0)
	v_cmp_gt_u64_e32 vcc, s[8:9], v[42:43]
	s_and_saveexec_b64 s[0:1], vcc
	s_cbranch_execz .LBB0_31
; %bb.1:
	s_load_dwordx4 s[12:15], s[4:5], 0x18
	s_load_dwordx2 s[16:17], s[4:5], 0x0
	s_movk_i32 s6, 0x5a
	v_mul_lo_u16_sdwa v1, v1, s6 dst_sel:DWORD dst_unused:UNUSED_PAD src0_sel:WORD_1 src1_sel:DWORD
	v_sub_u16_e32 v128, v0, v1
	s_waitcnt lgkmcnt(0)
	s_load_dwordx4 s[0:3], s[12:13], 0x0
	v_lshlrev_b32_e32 v109, 2, v128
	global_load_dword v130, v109, s[16:17]
	s_movk_i32 s8, 0x1000
	s_waitcnt lgkmcnt(0)
	v_mad_u64_u32 v[0:1], s[6:7], s2, v42, 0
	v_mad_u64_u32 v[2:3], s[6:7], s0, v128, 0
	v_add_co_u32_e64 v40, s[6:7], s16, v109
	v_mad_u64_u32 v[4:5], s[2:3], s3, v42, v[1:2]
	v_mad_u64_u32 v[5:6], s[2:3], s1, v128, v[3:4]
	v_mov_b32_e32 v1, v4
	v_lshlrev_b64 v[0:1], 2, v[0:1]
	v_mov_b32_e32 v6, s11
	v_mov_b32_e32 v3, v5
	v_add_co_u32_e32 v4, vcc, s10, v0
	v_addc_co_u32_e32 v5, vcc, v6, v1, vcc
	v_lshlrev_b64 v[0:1], 2, v[2:3]
	s_mul_i32 s2, s1, 0xe1
	s_mul_hi_u32 s3, s0, 0xe1
	v_add_co_u32_e32 v0, vcc, v4, v0
	s_add_i32 s3, s3, s2
	s_mul_i32 s2, s0, 0xe1
	v_addc_co_u32_e32 v1, vcc, v5, v1, vcc
	s_lshl_b64 s[2:3], s[2:3], 2
	global_load_dword v4, v[0:1], off
	v_mov_b32_e32 v5, s3
	v_add_co_u32_e32 v0, vcc, s2, v0
	v_addc_co_u32_e32 v1, vcc, v1, v5, vcc
	global_load_dword v6, v[0:1], off
	global_load_dword v129, v109, s[16:17] offset:900
	v_add_co_u32_e32 v0, vcc, s2, v0
	v_addc_co_u32_e32 v1, vcc, v1, v5, vcc
	global_load_dword v7, v[0:1], off
	global_load_dword v127, v109, s[16:17] offset:1800
	;; [unrolled: 4-line block ×3, first 2 shown]
	v_mov_b32_e32 v2, s17
	v_add_co_u32_e32 v0, vcc, s2, v0
	v_addc_co_u32_e32 v1, vcc, v1, v5, vcc
	v_addc_co_u32_e64 v41, vcc, 0, v2, s[6:7]
	global_load_dword v9, v[0:1], off
	global_load_dword v125, v109, s[16:17] offset:3600
	v_add_co_u32_e32 v2, vcc, s2, v0
	v_addc_co_u32_e32 v3, vcc, v1, v5, vcc
	v_add_co_u32_e32 v0, vcc, s8, v40
	global_load_dword v10, v[2:3], off
	v_addc_co_u32_e32 v1, vcc, 0, v41, vcc
	global_load_dword v123, v[0:1], off offset:404
	v_add_co_u32_e32 v2, vcc, s2, v2
	v_addc_co_u32_e32 v3, vcc, v3, v5, vcc
	s_load_dwordx2 s[12:13], s[4:5], 0x38
	s_load_dwordx4 s[8:11], s[14:15], 0x0
	global_load_dword v116, v109, s[16:17] offset:3060
	global_load_dword v117, v109, s[16:17] offset:2160
	global_load_dword v11, v[2:3], off
	global_load_dword v124, v[0:1], off offset:1304
	global_load_dword v118, v109, s[16:17] offset:1260
	global_load_dword v119, v109, s[16:17] offset:360
	v_add_co_u32_e32 v2, vcc, s2, v2
	v_addc_co_u32_e32 v3, vcc, v3, v5, vcc
	global_load_dword v12, v[2:3], off
	global_load_dword v122, v[0:1], off offset:2204
	global_load_dword v115, v109, s[16:17] offset:3960
	v_add_co_u32_e32 v2, vcc, s2, v2
	v_addc_co_u32_e32 v3, vcc, v3, v5, vcc
	s_mul_hi_u32 s14, s0, 0xfffff871
	s_mulk_i32 s1, 0xf871
	s_sub_i32 s14, s14, s0
	s_add_i32 s1, s14, s1
	s_mulk_i32 s0, 0xf871
	s_lshl_b64 s[18:19], s[0:1], 2
	v_cmp_gt_u16_e64 s[0:1], 45, v128
	s_waitcnt vmcnt(19)
	v_lshrrev_b32_e32 v13, 16, v4
	v_mul_f16_sdwa v14, v130, v4 dst_sel:DWORD dst_unused:UNUSED_PAD src0_sel:WORD_1 src1_sel:DWORD
	v_mul_f16_sdwa v15, v130, v13 dst_sel:DWORD dst_unused:UNUSED_PAD src0_sel:WORD_1 src1_sel:DWORD
	v_fma_f16 v13, v130, v13, -v14
	v_fma_f16 v4, v130, v4, v15
	s_waitcnt vmcnt(18)
	v_lshrrev_b32_e32 v14, 16, v6
	s_waitcnt vmcnt(17)
	v_mul_f16_sdwa v16, v129, v6 dst_sel:DWORD dst_unused:UNUSED_PAD src0_sel:WORD_1 src1_sel:DWORD
	v_mul_f16_sdwa v15, v129, v14 dst_sel:DWORD dst_unused:UNUSED_PAD src0_sel:WORD_1 src1_sel:DWORD
	v_fma_f16 v14, v129, v14, -v16
	v_pack_b32_f16 v13, v4, v13
	s_waitcnt vmcnt(16)
	v_lshrrev_b32_e32 v16, 16, v7
	v_fma_f16 v4, v129, v6, v15
	s_waitcnt vmcnt(15)
	v_mul_f16_sdwa v6, v127, v16 dst_sel:DWORD dst_unused:UNUSED_PAD src0_sel:WORD_1 src1_sel:DWORD
	v_pack_b32_f16 v4, v4, v14
	ds_write_b32 v109, v4 offset:900
	v_fma_f16 v4, v127, v7, v6
	v_mul_f16_sdwa v6, v127, v7 dst_sel:DWORD dst_unused:UNUSED_PAD src0_sel:WORD_1 src1_sel:DWORD
	v_fma_f16 v6, v127, v16, -v6
	v_pack_b32_f16 v4, v4, v6
	ds_write_b32 v109, v4 offset:1800
	s_waitcnt vmcnt(14)
	v_lshrrev_b32_e32 v4, 16, v8
	s_waitcnt vmcnt(13)
	v_mul_f16_sdwa v6, v126, v4 dst_sel:DWORD dst_unused:UNUSED_PAD src0_sel:WORD_1 src1_sel:DWORD
	v_mul_f16_sdwa v7, v126, v8 dst_sel:DWORD dst_unused:UNUSED_PAD src0_sel:WORD_1 src1_sel:DWORD
	v_fma_f16 v6, v126, v8, v6
	v_fma_f16 v4, v126, v4, -v7
	v_pack_b32_f16 v4, v6, v4
	ds_write_b32 v109, v4 offset:2700
	s_waitcnt vmcnt(12)
	v_lshrrev_b32_e32 v4, 16, v9
	s_waitcnt vmcnt(11)
	v_mul_f16_sdwa v6, v125, v4 dst_sel:DWORD dst_unused:UNUSED_PAD src0_sel:WORD_1 src1_sel:DWORD
	v_mul_f16_sdwa v7, v125, v9 dst_sel:DWORD dst_unused:UNUSED_PAD src0_sel:WORD_1 src1_sel:DWORD
	v_fma_f16 v6, v125, v9, v6
	;; [unrolled: 9-line block ×3, first 2 shown]
	v_fma_f16 v4, v123, v4, -v7
	global_load_dword v111, v[0:1], off offset:3464
	global_load_dword v121, v[0:1], off offset:3104
	;; [unrolled: 1-line block ×5, first 2 shown]
	v_pack_b32_f16 v4, v6, v4
	global_load_dword v6, v[2:3], off
	v_add_co_u32_e32 v2, vcc, s2, v2
	ds_write_b32 v109, v4 offset:4500
	v_addc_co_u32_e32 v3, vcc, v3, v5, vcc
	global_load_dword v7, v[2:3], off
	global_load_dword v120, v[0:1], off offset:4004
	v_mov_b32_e32 v4, s19
	v_add_co_u32_e32 v2, vcc, s18, v2
	v_addc_co_u32_e32 v3, vcc, v3, v4, vcc
	global_load_dword v8, v[2:3], off
	v_add_co_u32_e32 v2, vcc, s2, v2
	v_addc_co_u32_e32 v3, vcc, v3, v5, vcc
	global_load_dword v10, v[2:3], off
	v_add_co_u32_e32 v2, vcc, s2, v2
	v_addc_co_u32_e32 v3, vcc, v3, v5, vcc
	s_waitcnt vmcnt(16)
	v_lshrrev_b32_e32 v4, 16, v11
	global_load_dword v14, v[2:3], off
	s_waitcnt vmcnt(16)
	v_mul_f16_sdwa v9, v124, v4 dst_sel:DWORD dst_unused:UNUSED_PAD src0_sel:WORD_1 src1_sel:DWORD
	v_fma_f16 v9, v124, v11, v9
	v_mul_f16_sdwa v11, v124, v11 dst_sel:DWORD dst_unused:UNUSED_PAD src0_sel:WORD_1 src1_sel:DWORD
	v_add_co_u32_e32 v2, vcc, s2, v2
	v_fma_f16 v4, v124, v4, -v11
	v_addc_co_u32_e32 v3, vcc, v3, v5, vcc
	v_pack_b32_f16 v4, v9, v4
	global_load_dword v9, v[2:3], off
	v_add_co_u32_e32 v2, vcc, s2, v2
	v_addc_co_u32_e32 v3, vcc, v3, v5, vcc
	global_load_dword v11, v[2:3], off
	v_add_co_u32_e32 v2, vcc, s2, v2
	v_addc_co_u32_e32 v3, vcc, v3, v5, vcc
	global_load_dword v16, v[2:3], off
	ds_write_b32 v109, v4 offset:5400
	s_waitcnt vmcnt(16)
	v_lshrrev_b32_e32 v4, 16, v12
	s_waitcnt vmcnt(15)
	v_mul_f16_sdwa v15, v122, v4 dst_sel:DWORD dst_unused:UNUSED_PAD src0_sel:WORD_1 src1_sel:DWORD
	v_add_co_u32_e32 v2, vcc, s2, v2
	v_fma_f16 v15, v122, v12, v15
	v_mul_f16_sdwa v12, v122, v12 dst_sel:DWORD dst_unused:UNUSED_PAD src0_sel:WORD_1 src1_sel:DWORD
	v_addc_co_u32_e32 v3, vcc, v3, v5, vcc
	v_fma_f16 v4, v122, v4, -v12
	global_load_dword v12, v[2:3], off
	v_add_co_u32_e32 v2, vcc, s2, v2
	v_addc_co_u32_e32 v3, vcc, v3, v5, vcc
	global_load_dword v17, v[2:3], off
	v_add_co_u32_e32 v2, vcc, s2, v2
	v_addc_co_u32_e32 v3, vcc, v3, v5, vcc
	;; [unrolled: 3-line block ×3, first 2 shown]
	v_pack_b32_f16 v15, v15, v4
	v_add_co_u32_e32 v4, vcc, 0x2000, v40
	global_load_dword v19, v[2:3], off
	v_addc_co_u32_e32 v5, vcc, 0, v41, vcc
	global_load_dword v110, v[4:5], off offset:268
	ds_write_b32 v109, v15 offset:6300
	s_waitcnt vmcnt(13)
	v_lshrrev_b32_e32 v4, 16, v6
	v_mul_f16_sdwa v5, v121, v4 dst_sel:DWORD dst_unused:UNUSED_PAD src0_sel:WORD_1 src1_sel:DWORD
	v_fma_f16 v5, v121, v6, v5
	v_mul_f16_sdwa v6, v121, v6 dst_sel:DWORD dst_unused:UNUSED_PAD src0_sel:WORD_1 src1_sel:DWORD
	v_fma_f16 v4, v121, v4, -v6
	v_pack_b32_f16 v4, v5, v4
	ds_write_b32 v109, v4 offset:7200
	s_waitcnt vmcnt(12)
	v_lshrrev_b32_e32 v4, 16, v7
	s_waitcnt vmcnt(11)
	v_mul_f16_sdwa v5, v120, v4 dst_sel:DWORD dst_unused:UNUSED_PAD src0_sel:WORD_1 src1_sel:DWORD
	v_mul_f16_sdwa v6, v120, v7 dst_sel:DWORD dst_unused:UNUSED_PAD src0_sel:WORD_1 src1_sel:DWORD
	v_fma_f16 v5, v120, v7, v5
	v_fma_f16 v4, v120, v4, -v6
	v_pack_b32_f16 v4, v5, v4
	ds_write_b32 v109, v4 offset:8100
	s_waitcnt vmcnt(10)
	v_lshrrev_b32_e32 v4, 16, v8
	v_mul_f16_sdwa v5, v119, v4 dst_sel:DWORD dst_unused:UNUSED_PAD src0_sel:WORD_1 src1_sel:DWORD
	v_mul_f16_sdwa v6, v119, v8 dst_sel:DWORD dst_unused:UNUSED_PAD src0_sel:WORD_1 src1_sel:DWORD
	v_fma_f16 v5, v119, v8, v5
	v_fma_f16 v4, v119, v4, -v6
	v_pack_b32_f16 v4, v5, v4
	ds_write2_b32 v109, v13, v4 offset1:90
	s_waitcnt vmcnt(9)
	v_lshrrev_b32_e32 v4, 16, v10
	v_mul_f16_sdwa v5, v118, v4 dst_sel:DWORD dst_unused:UNUSED_PAD src0_sel:WORD_1 src1_sel:DWORD
	v_mul_f16_sdwa v6, v118, v10 dst_sel:DWORD dst_unused:UNUSED_PAD src0_sel:WORD_1 src1_sel:DWORD
	v_fma_f16 v5, v118, v10, v5
	v_fma_f16 v4, v118, v4, -v6
	v_pack_b32_f16 v4, v5, v4
	ds_write_b32 v109, v4 offset:1260
	s_waitcnt vmcnt(8)
	v_lshrrev_b32_e32 v4, 16, v14
	v_mul_f16_sdwa v5, v117, v4 dst_sel:DWORD dst_unused:UNUSED_PAD src0_sel:WORD_1 src1_sel:DWORD
	v_mul_f16_sdwa v6, v117, v14 dst_sel:DWORD dst_unused:UNUSED_PAD src0_sel:WORD_1 src1_sel:DWORD
	v_fma_f16 v5, v117, v14, v5
	v_fma_f16 v4, v117, v4, -v6
	v_pack_b32_f16 v4, v5, v4
	ds_write_b32 v109, v4 offset:2160
	;; [unrolled: 8-line block ×8, first 2 shown]
	s_waitcnt vmcnt(1)
	v_lshrrev_b32_e32 v4, 16, v19
	s_waitcnt vmcnt(0)
	v_mul_f16_sdwa v5, v110, v4 dst_sel:DWORD dst_unused:UNUSED_PAD src0_sel:WORD_1 src1_sel:DWORD
	v_mul_f16_sdwa v6, v110, v19 dst_sel:DWORD dst_unused:UNUSED_PAD src0_sel:WORD_1 src1_sel:DWORD
	v_fma_f16 v5, v110, v19, v5
	v_fma_f16 v4, v110, v4, -v6
	v_pack_b32_f16 v4, v5, v4
	ds_write_b32 v109, v4 offset:8460
	s_and_saveexec_b64 s[14:15], s[0:1]
	s_cbranch_execz .LBB0_3
; %bb.2:
	v_mov_b32_e32 v4, s19
	v_add_co_u32_e32 v2, vcc, s18, v2
	v_addc_co_u32_e32 v3, vcc, v3, v4, vcc
	global_load_dword v4, v[2:3], off
	global_load_dword v5, v[40:41], off offset:720
	v_mov_b32_e32 v6, s3
	v_add_co_u32_e32 v2, vcc, s2, v2
	v_addc_co_u32_e32 v3, vcc, v3, v6, vcc
	global_load_dword v7, v[2:3], off
	global_load_dword v8, v[40:41], off offset:1620
	v_add_co_u32_e32 v2, vcc, s2, v2
	v_addc_co_u32_e32 v3, vcc, v3, v6, vcc
	global_load_dword v9, v[2:3], off
	global_load_dword v10, v[40:41], off offset:2520
	;; [unrolled: 4-line block ×8, first 2 shown]
	v_add_co_u32_e32 v0, vcc, s2, v2
	v_addc_co_u32_e32 v1, vcc, v3, v6, vcc
	global_load_dword v2, v[0:1], off
	v_add_co_u32_e32 v0, vcc, 0x2000, v40
	v_addc_co_u32_e32 v1, vcc, 0, v41, vcc
	global_load_dword v0, v[0:1], off offset:628
	v_add_u32_e32 v1, 0x280, v109
	s_waitcnt vmcnt(19)
	v_lshrrev_b32_e32 v3, 16, v4
	s_waitcnt vmcnt(18)
	v_mul_f16_sdwa v6, v5, v4 dst_sel:DWORD dst_unused:UNUSED_PAD src0_sel:WORD_1 src1_sel:DWORD
	v_mul_f16_sdwa v23, v5, v3 dst_sel:DWORD dst_unused:UNUSED_PAD src0_sel:WORD_1 src1_sel:DWORD
	v_fma_f16 v3, v5, v3, -v6
	v_fma_f16 v4, v5, v4, v23
	v_pack_b32_f16 v3, v4, v3
	s_waitcnt vmcnt(17)
	v_lshrrev_b32_e32 v6, 16, v7
	s_waitcnt vmcnt(16)
	v_mul_f16_sdwa v24, v8, v7 dst_sel:DWORD dst_unused:UNUSED_PAD src0_sel:WORD_1 src1_sel:DWORD
	v_mul_f16_sdwa v5, v8, v6 dst_sel:DWORD dst_unused:UNUSED_PAD src0_sel:WORD_1 src1_sel:DWORD
	v_fma_f16 v6, v8, v6, -v24
	v_fma_f16 v4, v8, v7, v5
	s_waitcnt vmcnt(15)
	v_lshrrev_b32_e32 v23, 16, v9
	v_pack_b32_f16 v4, v4, v6
	s_waitcnt vmcnt(14)
	v_mul_f16_sdwa v24, v10, v9 dst_sel:DWORD dst_unused:UNUSED_PAD src0_sel:WORD_1 src1_sel:DWORD
	v_mul_f16_sdwa v5, v10, v23 dst_sel:DWORD dst_unused:UNUSED_PAD src0_sel:WORD_1 src1_sel:DWORD
	ds_write2_b32 v1, v3, v4 offset0:20 offset1:245
	s_waitcnt vmcnt(13)
	v_lshrrev_b32_e32 v8, 16, v11
	s_waitcnt vmcnt(12)
	v_mul_f16_sdwa v3, v12, v8 dst_sel:DWORD dst_unused:UNUSED_PAD src0_sel:WORD_1 src1_sel:DWORD
	v_mul_f16_sdwa v4, v12, v11 dst_sel:DWORD dst_unused:UNUSED_PAD src0_sel:WORD_1 src1_sel:DWORD
	v_fma_f16 v7, v10, v23, -v24
	v_fma_f16 v5, v10, v9, v5
	v_fma_f16 v3, v12, v11, v3
	v_fma_f16 v4, v12, v8, -v4
	v_pack_b32_f16 v1, v5, v7
	v_pack_b32_f16 v3, v3, v4
	v_add_u32_e32 v4, 0x980, v109
	ds_write2_b32 v4, v1, v3 offset0:22 offset1:247
	s_waitcnt vmcnt(11)
	v_lshrrev_b32_e32 v1, 16, v13
	s_waitcnt vmcnt(10)
	v_mul_f16_sdwa v3, v14, v1 dst_sel:DWORD dst_unused:UNUSED_PAD src0_sel:WORD_1 src1_sel:DWORD
	v_mul_f16_sdwa v4, v14, v13 dst_sel:DWORD dst_unused:UNUSED_PAD src0_sel:WORD_1 src1_sel:DWORD
	v_fma_f16 v3, v14, v13, v3
	v_fma_f16 v1, v14, v1, -v4
	v_pack_b32_f16 v1, v3, v1
	s_waitcnt vmcnt(9)
	v_lshrrev_b32_e32 v3, 16, v15
	s_waitcnt vmcnt(8)
	v_mul_f16_sdwa v4, v16, v3 dst_sel:DWORD dst_unused:UNUSED_PAD src0_sel:WORD_1 src1_sel:DWORD
	v_mul_f16_sdwa v5, v16, v15 dst_sel:DWORD dst_unused:UNUSED_PAD src0_sel:WORD_1 src1_sel:DWORD
	v_fma_f16 v4, v16, v15, v4
	v_fma_f16 v3, v16, v3, -v5
	v_pack_b32_f16 v3, v4, v3
	v_add_u32_e32 v4, 0x1080, v109
	ds_write2_b32 v4, v1, v3 offset0:24 offset1:249
	s_waitcnt vmcnt(7)
	v_lshrrev_b32_e32 v1, 16, v17
	s_waitcnt vmcnt(6)
	v_mul_f16_sdwa v3, v18, v1 dst_sel:DWORD dst_unused:UNUSED_PAD src0_sel:WORD_1 src1_sel:DWORD
	v_mul_f16_sdwa v4, v18, v17 dst_sel:DWORD dst_unused:UNUSED_PAD src0_sel:WORD_1 src1_sel:DWORD
	v_fma_f16 v3, v18, v17, v3
	v_fma_f16 v1, v18, v1, -v4
	v_pack_b32_f16 v1, v3, v1
	s_waitcnt vmcnt(5)
	v_lshrrev_b32_e32 v3, 16, v19
	s_waitcnt vmcnt(4)
	v_mul_f16_sdwa v4, v20, v3 dst_sel:DWORD dst_unused:UNUSED_PAD src0_sel:WORD_1 src1_sel:DWORD
	v_mul_f16_sdwa v5, v20, v19 dst_sel:DWORD dst_unused:UNUSED_PAD src0_sel:WORD_1 src1_sel:DWORD
	v_fma_f16 v4, v20, v19, v4
	v_fma_f16 v3, v20, v3, -v5
	v_pack_b32_f16 v3, v4, v3
	v_add_u32_e32 v4, 0x1780, v109
	ds_write2_b32 v4, v1, v3 offset0:26 offset1:251
	s_waitcnt vmcnt(3)
	v_lshrrev_b32_e32 v1, 16, v21
	s_waitcnt vmcnt(2)
	v_mul_f16_sdwa v3, v22, v1 dst_sel:DWORD dst_unused:UNUSED_PAD src0_sel:WORD_1 src1_sel:DWORD
	v_mul_f16_sdwa v4, v22, v21 dst_sel:DWORD dst_unused:UNUSED_PAD src0_sel:WORD_1 src1_sel:DWORD
	v_fma_f16 v3, v22, v21, v3
	v_fma_f16 v1, v22, v1, -v4
	v_pack_b32_f16 v1, v3, v1
	s_waitcnt vmcnt(1)
	v_lshrrev_b32_e32 v3, 16, v2
	s_waitcnt vmcnt(0)
	v_mul_f16_sdwa v4, v0, v3 dst_sel:DWORD dst_unused:UNUSED_PAD src0_sel:WORD_1 src1_sel:DWORD
	v_fma_f16 v4, v0, v2, v4
	v_mul_f16_sdwa v2, v0, v2 dst_sel:DWORD dst_unused:UNUSED_PAD src0_sel:WORD_1 src1_sel:DWORD
	v_fma_f16 v0, v0, v3, -v2
	v_pack_b32_f16 v0, v4, v0
	v_add_u32_e32 v2, 0x1e80, v109
	ds_write2_b32 v2, v1, v0 offset0:28 offset1:253
.LBB0_3:
	s_or_b64 exec, exec, s[14:15]
	v_add_u32_e32 v0, 0x200, v109
	s_waitcnt lgkmcnt(0)
	s_barrier
	ds_read2_b32 v[16:17], v0 offset0:97 offset1:187
	v_add_u32_e32 v0, 0x600, v109
	ds_read2_b32 v[18:19], v0 offset0:66 offset1:156
	v_add_u32_e32 v0, 0x800, v109
	;; [unrolled: 2-line block ×3, first 2 shown]
	v_add_u32_e32 v4, 0x1400, v109
	ds_read2_b32 v[2:3], v0 offset0:132 offset1:222
	v_add_u32_e32 v0, 0x1000, v109
	ds_read2_b32 v[6:7], v4 offset0:70 offset1:160
	v_add_u32_e32 v4, 0x1800, v109
	v_add_u32_e32 v8, 0x1c00, v109
	;; [unrolled: 1-line block ×3, first 2 shown]
	ds_read2_b32 v[20:21], v109 offset1:90
	ds_read2_b32 v[0:1], v0 offset0:101 offset1:191
	ds_read2_b32 v[4:5], v4 offset0:39 offset1:129
	;; [unrolled: 1-line block ×4, first 2 shown]
                                        ; implicit-def: $vgpr12
                                        ; implicit-def: $vgpr22
                                        ; implicit-def: $vgpr28
                                        ; implicit-def: $vgpr24
                                        ; implicit-def: $vgpr26
	s_and_saveexec_b64 s[2:3], s[0:1]
	s_cbranch_execz .LBB0_5
; %bb.4:
	v_add_u32_e32 v24, 0x1080, v109
	v_add_u32_e32 v12, 0x280, v109
	v_add_u32_e32 v22, 0x980, v109
	ds_read2_b32 v[28:29], v24 offset0:24 offset1:249
	v_add_u32_e32 v24, 0x1780, v109
	v_add_u32_e32 v26, 0x1e80, v109
	ds_read2_b32 v[12:13], v12 offset0:20 offset1:245
	ds_read2_b32 v[22:23], v22 offset0:22 offset1:247
	;; [unrolled: 1-line block ×4, first 2 shown]
.LBB0_5:
	s_or_b64 exec, exec, s[2:3]
	s_waitcnt lgkmcnt(5)
	v_add_f16_e32 v30, v2, v6
	s_waitcnt lgkmcnt(4)
	v_fma_f16 v30, v30, -0.5, v20
	s_waitcnt lgkmcnt(1)
	v_sub_f16_sdwa v31, v18, v8 dst_sel:DWORD dst_unused:UNUSED_PAD src0_sel:WORD_1 src1_sel:WORD_1
	s_movk_i32 s3, 0x3b9c
	s_mov_b32 s16, 0xbb9c
	v_fma_f16 v33, v31, s3, v30
	v_sub_f16_sdwa v34, v2, v6 dst_sel:DWORD dst_unused:UNUSED_PAD src0_sel:WORD_1 src1_sel:WORD_1
	s_movk_i32 s2, 0x38b4
	v_sub_f16_e32 v35, v8, v6
	v_sub_f16_e32 v36, v18, v2
	v_fma_f16 v30, v31, s16, v30
	s_mov_b32 s18, 0xb8b4
	v_fma_f16 v33, v34, s2, v33
	v_add_f16_e32 v35, v36, v35
	s_movk_i32 s19, 0x34f2
	v_fma_f16 v30, v34, s18, v30
	v_fma_f16 v33, v35, s19, v33
	;; [unrolled: 1-line block ×3, first 2 shown]
	v_add_f16_e32 v30, v18, v8
	v_fma_f16 v30, v30, -0.5, v20
	v_fma_f16 v36, v34, s16, v30
	v_sub_f16_e32 v37, v6, v8
	v_sub_f16_e32 v38, v2, v18
	v_fma_f16 v30, v34, s3, v30
	v_add_f16_e32 v37, v38, v37
	v_fma_f16 v30, v31, s18, v30
	v_pk_add_f16 v32, v20, v18
	v_fma_f16 v34, v37, s19, v30
	v_add_f16_sdwa v30, v2, v6 dst_sel:DWORD dst_unused:UNUSED_PAD src0_sel:WORD_1 src1_sel:WORD_1
	v_lshrrev_b32_e32 v20, 16, v20
	v_fma_f16 v36, v31, s2, v36
	v_fma_f16 v30, v30, -0.5, v20
	v_sub_f16_e32 v31, v18, v8
	v_fma_f16 v36, v37, s19, v36
	v_fma_f16 v37, v31, s16, v30
	v_sub_f16_e32 v38, v2, v6
	v_sub_f16_sdwa v39, v18, v2 dst_sel:DWORD dst_unused:UNUSED_PAD src0_sel:WORD_1 src1_sel:WORD_1
	v_sub_f16_sdwa v43, v8, v6 dst_sel:DWORD dst_unused:UNUSED_PAD src0_sel:WORD_1 src1_sel:WORD_1
	v_fma_f16 v30, v31, s3, v30
	v_fma_f16 v37, v38, s18, v37
	v_add_f16_e32 v39, v39, v43
	v_fma_f16 v30, v38, s2, v30
	v_fma_f16 v37, v39, s19, v37
	;; [unrolled: 1-line block ×3, first 2 shown]
	v_add_f16_sdwa v30, v18, v8 dst_sel:DWORD dst_unused:UNUSED_PAD src0_sel:WORD_1 src1_sel:WORD_1
	v_fma_f16 v20, v30, -0.5, v20
	v_fma_f16 v30, v38, s3, v20
	v_fma_f16 v20, v38, s16, v20
	;; [unrolled: 1-line block ×4, first 2 shown]
	v_add_f16_e32 v31, v0, v4
	v_sub_f16_sdwa v18, v2, v18 dst_sel:DWORD dst_unused:UNUSED_PAD src0_sel:WORD_1 src1_sel:WORD_1
	v_sub_f16_sdwa v43, v6, v8 dst_sel:DWORD dst_unused:UNUSED_PAD src0_sel:WORD_1 src1_sel:WORD_1
	v_fma_f16 v31, v31, -0.5, v16
	s_waitcnt lgkmcnt(0)
	v_sub_f16_sdwa v38, v14, v10 dst_sel:DWORD dst_unused:UNUSED_PAD src0_sel:WORD_1 src1_sel:WORD_1
	v_add_f16_e32 v18, v18, v43
	v_fma_f16 v43, v38, s3, v31
	v_sub_f16_sdwa v44, v0, v4 dst_sel:DWORD dst_unused:UNUSED_PAD src0_sel:WORD_1 src1_sel:WORD_1
	v_sub_f16_e32 v45, v10, v4
	v_sub_f16_e32 v46, v14, v0
	v_fma_f16 v31, v38, s16, v31
	v_fma_f16 v43, v44, s2, v43
	v_add_f16_e32 v45, v46, v45
	v_fma_f16 v31, v44, s18, v31
	v_fma_f16 v43, v45, s19, v43
	;; [unrolled: 1-line block ×3, first 2 shown]
	v_add_f16_e32 v45, v14, v10
	v_fma_f16 v45, v45, -0.5, v16
	v_fma_f16 v46, v44, s16, v45
	v_fma_f16 v44, v44, s3, v45
	;; [unrolled: 1-line block ×4, first 2 shown]
	v_pk_add_f16 v20, v16, v14
	v_fma_f16 v46, v38, s2, v46
	v_sub_f16_e32 v47, v4, v10
	v_sub_f16_e32 v48, v0, v14
	v_fma_f16 v38, v38, s18, v44
	v_add_f16_sdwa v44, v0, v4 dst_sel:DWORD dst_unused:UNUSED_PAD src0_sel:WORD_1 src1_sel:WORD_1
	v_lshrrev_b32_e32 v16, 16, v16
	v_add_f16_e32 v47, v48, v47
	v_fma_f16 v44, v44, -0.5, v16
	v_sub_f16_e32 v45, v14, v10
	v_fma_f16 v46, v47, s19, v46
	v_fma_f16 v38, v47, s19, v38
	;; [unrolled: 1-line block ×3, first 2 shown]
	v_sub_f16_e32 v48, v0, v4
	v_sub_f16_sdwa v49, v14, v0 dst_sel:DWORD dst_unused:UNUSED_PAD src0_sel:WORD_1 src1_sel:WORD_1
	v_sub_f16_sdwa v50, v10, v4 dst_sel:DWORD dst_unused:UNUSED_PAD src0_sel:WORD_1 src1_sel:WORD_1
	v_fma_f16 v44, v45, s3, v44
	v_fma_f16 v47, v48, s18, v47
	v_add_f16_e32 v49, v49, v50
	v_fma_f16 v44, v48, s2, v44
	v_fma_f16 v47, v49, s19, v47
	;; [unrolled: 1-line block ×3, first 2 shown]
	v_add_f16_sdwa v49, v14, v10 dst_sel:DWORD dst_unused:UNUSED_PAD src0_sel:WORD_1 src1_sel:WORD_1
	v_fma_f16 v16, v49, -0.5, v16
	v_fma_f16 v49, v48, s3, v16
	v_sub_f16_sdwa v14, v0, v14 dst_sel:DWORD dst_unused:UNUSED_PAD src0_sel:WORD_1 src1_sel:WORD_1
	v_sub_f16_sdwa v50, v4, v10 dst_sel:DWORD dst_unused:UNUSED_PAD src0_sel:WORD_1 src1_sel:WORD_1
	v_fma_f16 v49, v45, s18, v49
	v_add_f16_e32 v14, v14, v50
	v_fma_f16 v16, v48, s16, v16
	v_fma_f16 v49, v14, s19, v49
	;; [unrolled: 1-line block ×4, first 2 shown]
	v_mul_f16_e32 v48, 0x3b9c, v49
	v_mul_f16_e32 v51, 0x34f2, v38
	s_movk_i32 s20, 0x3a79
	v_mul_f16_e32 v16, 0x3a79, v43
	v_fma_f16 v48, v46, s19, v48
	v_fma_f16 v51, v14, s3, -v51
	v_mul_f16_e32 v43, 0xb8b4, v43
	v_mul_f16_e32 v46, 0xbb9c, v46
	;; [unrolled: 1-line block ×3, first 2 shown]
	v_pk_add_f16 v2, v32, v2
	v_pk_add_f16 v0, v20, v0
	v_fma_f16 v16, v47, s2, v16
	v_mul_f16_e32 v53, 0x3a79, v31
	v_fma_f16 v43, v47, s20, v43
	v_fma_f16 v46, v49, s19, v46
	v_fma_f16 v14, v38, s16, -v14
	v_pk_add_f16 v2, v2, v6
	v_pk_add_f16 v0, v0, v4
	v_add_f16_e32 v45, v33, v16
	v_add_f16_e32 v50, v36, v48
	;; [unrolled: 1-line block ×3, first 2 shown]
	v_fma_f16 v53, v44, s2, -v53
	v_add_f16_e32 v47, v37, v43
	v_add_f16_e32 v49, v30, v46
	;; [unrolled: 1-line block ×3, first 2 shown]
	v_mul_f16_e32 v44, 0x3a79, v44
	v_sub_f16_e32 v16, v33, v16
	v_mul_lo_u16_e32 v33, 10, v128
	v_pk_add_f16 v2, v2, v8
	v_pk_add_f16 v0, v0, v10
	v_fma_f16 v44, v31, s18, -v44
	v_sub_f16_e32 v37, v37, v43
	v_sub_f16_e32 v43, v30, v46
	v_pk_add_f16 v46, v12, v22
	v_pack_b32_f16 v31, v52, v38
	v_pack_b32_f16 v30, v50, v49
	v_lshlrev_b32_e32 v131, 2, v33
	v_pack_b32_f16 v33, v45, v47
	v_pk_add_f16 v32, v2, v0
	v_pk_add_f16 v4, v13, v23
	v_sub_f16_e32 v34, v34, v51
	v_sub_f16_e32 v51, v18, v14
	;; [unrolled: 1-line block ×4, first 2 shown]
	v_add_f16_e32 v54, v35, v53
	v_add_f16_e32 v55, v39, v44
	v_sub_f16_e32 v36, v36, v48
	s_barrier
	ds_write2_b64 v131, v[32:33], v[30:31] offset1:1
	v_pk_add_f16 v33, v2, v0 neg_lo:[0,1] neg_hi:[0,1]
	v_pk_add_f16 v0, v46, v28
	v_pk_add_f16 v4, v4, v29
	v_add_f16_e32 v10, v14, v10
	v_add_f16_e32 v14, v3, v7
	v_pack_b32_f16 v30, v16, v37
	v_pack_b32_f16 v31, v36, v43
	;; [unrolled: 1-line block ×3, first 2 shown]
	v_pk_add_f16 v0, v0, v24
	v_pk_add_f16 v4, v4, v25
	v_fma_f16 v14, v14, -0.5, v21
	v_sub_f16_sdwa v18, v19, v9 dst_sel:DWORD dst_unused:UNUSED_PAD src0_sel:WORD_1 src1_sel:WORD_1
	v_add_f16_e32 v48, v28, v24
	v_sub_f16_sdwa v56, v22, v26 dst_sel:DWORD dst_unused:UNUSED_PAD src0_sel:WORD_1 src1_sel:WORD_1
	v_sub_f16_sdwa v57, v28, v24 dst_sel:DWORD dst_unused:UNUSED_PAD src0_sel:WORD_1 src1_sel:WORD_1
	v_sub_f16_e32 v58, v22, v28
	v_add_f16_e32 v59, v22, v26
	v_sub_f16_e32 v60, v28, v22
	v_add_f16_sdwa v38, v28, v24 dst_sel:DWORD dst_unused:UNUSED_PAD src0_sel:WORD_1 src1_sel:WORD_1
	v_sub_f16_e32 v20, v22, v26
	v_sub_f16_e32 v45, v28, v24
	v_sub_f16_sdwa v47, v22, v28 dst_sel:DWORD dst_unused:UNUSED_PAD src0_sel:WORD_1 src1_sel:WORD_1
	v_sub_f16_sdwa v49, v28, v22 dst_sel:DWORD dst_unused:UNUSED_PAD src0_sel:WORD_1 src1_sel:WORD_1
	v_add_f16_e32 v16, v29, v25
	v_sub_f16_sdwa v2, v29, v25 dst_sel:DWORD dst_unused:UNUSED_PAD src0_sel:WORD_1 src1_sel:WORD_1
	v_sub_f16_e32 v36, v23, v29
	ds_write2_b64 v131, v[32:33], v[30:31] offset0:2 offset1:3
	v_sub_f16_e32 v30, v29, v23
	v_add_f16_sdwa v28, v29, v25 dst_sel:DWORD dst_unused:UNUSED_PAD src0_sel:WORD_1 src1_sel:WORD_1
	v_sub_f16_e32 v31, v29, v25
	v_sub_f16_sdwa v32, v23, v29 dst_sel:DWORD dst_unused:UNUSED_PAD src0_sel:WORD_1 src1_sel:WORD_1
	v_sub_f16_sdwa v29, v29, v23 dst_sel:DWORD dst_unused:UNUSED_PAD src0_sel:WORD_1 src1_sel:WORD_1
	v_add_f16_sdwa v22, v22, v26 dst_sel:DWORD dst_unused:UNUSED_PAD src0_sel:WORD_1 src1_sel:WORD_1
	v_sub_f16_sdwa v33, v23, v27 dst_sel:DWORD dst_unused:UNUSED_PAD src0_sel:WORD_1 src1_sel:WORD_1
	v_add_f16_e32 v37, v23, v27
	v_sub_f16_e32 v46, v23, v27
	v_add_f16_sdwa v23, v23, v27 dst_sel:DWORD dst_unused:UNUSED_PAD src0_sel:WORD_1 src1_sel:WORD_1
	v_sub_f16_e32 v6, v26, v24
	v_sub_f16_e32 v8, v24, v26
	v_sub_f16_sdwa v43, v26, v24 dst_sel:DWORD dst_unused:UNUSED_PAD src0_sel:WORD_1 src1_sel:WORD_1
	v_sub_f16_sdwa v24, v24, v26 dst_sel:DWORD dst_unused:UNUSED_PAD src0_sel:WORD_1 src1_sel:WORD_1
	v_sub_f16_e32 v50, v27, v25
	v_sub_f16_e32 v52, v25, v27
	v_sub_f16_sdwa v54, v27, v25 dst_sel:DWORD dst_unused:UNUSED_PAD src0_sel:WORD_1 src1_sel:WORD_1
	v_sub_f16_sdwa v25, v25, v27 dst_sel:DWORD dst_unused:UNUSED_PAD src0_sel:WORD_1 src1_sel:WORD_1
	v_pk_add_f16 v0, v0, v26
	v_pk_add_f16 v4, v4, v27
	v_fma_f16 v26, v18, s3, v14
	v_sub_f16_sdwa v27, v3, v7 dst_sel:DWORD dst_unused:UNUSED_PAD src0_sel:WORD_1 src1_sel:WORD_1
	v_fma_f16 v14, v18, s16, v14
	v_fma_f16 v26, v27, s2, v26
	;; [unrolled: 1-line block ×3, first 2 shown]
	v_sub_f16_e32 v39, v39, v44
	v_fma_f16 v26, v10, s19, v26
	v_fma_f16 v10, v10, s19, v14
	v_sub_f16_e32 v14, v7, v9
	v_sub_f16_e32 v44, v3, v19
	v_add_f16_e32 v14, v44, v14
	v_add_f16_e32 v44, v19, v9
	v_fma_f16 v44, v44, -0.5, v21
	v_sub_f16_e32 v35, v35, v53
	v_fma_f16 v53, v27, s16, v44
	v_fma_f16 v27, v27, s3, v44
	;; [unrolled: 1-line block ×6, first 2 shown]
	v_pk_add_f16 v53, v21, v19
	v_lshrrev_b32_e32 v18, 16, v21
	v_sub_f16_sdwa v21, v19, v3 dst_sel:DWORD dst_unused:UNUSED_PAD src0_sel:WORD_1 src1_sel:WORD_1
	v_sub_f16_sdwa v44, v9, v7 dst_sel:DWORD dst_unused:UNUSED_PAD src0_sel:WORD_1 src1_sel:WORD_1
	v_add_f16_e32 v21, v21, v44
	v_add_f16_sdwa v44, v3, v7 dst_sel:DWORD dst_unused:UNUSED_PAD src0_sel:WORD_1 src1_sel:WORD_1
	v_fma_f16 v44, v44, -0.5, v18
	v_sub_f16_e32 v55, v19, v9
	v_fma_f16 v61, v55, s16, v44
	v_sub_f16_e32 v62, v3, v7
	v_fma_f16 v44, v55, s3, v44
	v_fma_f16 v61, v62, s18, v61
	;; [unrolled: 1-line block ×5, first 2 shown]
	v_add_f16_sdwa v44, v19, v9 dst_sel:DWORD dst_unused:UNUSED_PAD src0_sel:WORD_1 src1_sel:WORD_1
	v_fma_f16 v18, v44, -0.5, v18
	v_sub_f16_sdwa v19, v3, v19 dst_sel:DWORD dst_unused:UNUSED_PAD src0_sel:WORD_1 src1_sel:WORD_1
	v_sub_f16_sdwa v44, v7, v9 dst_sel:DWORD dst_unused:UNUSED_PAD src0_sel:WORD_1 src1_sel:WORD_1
	v_add_f16_e32 v19, v19, v44
	v_fma_f16 v44, v62, s3, v18
	v_fma_f16 v18, v62, s16, v18
	;; [unrolled: 1-line block ×6, first 2 shown]
	v_sub_f16_e32 v19, v11, v5
	v_sub_f16_e32 v55, v15, v1
	v_add_f16_e32 v19, v55, v19
	v_add_f16_e32 v55, v1, v5
	v_fma_f16 v55, v55, -0.5, v17
	v_sub_f16_sdwa v62, v15, v11 dst_sel:DWORD dst_unused:UNUSED_PAD src0_sel:WORD_1 src1_sel:WORD_1
	v_fma_f16 v63, v62, s3, v55
	v_sub_f16_sdwa v64, v1, v5 dst_sel:DWORD dst_unused:UNUSED_PAD src0_sel:WORD_1 src1_sel:WORD_1
	v_fma_f16 v55, v62, s16, v55
	v_fma_f16 v63, v64, s2, v63
	;; [unrolled: 1-line block ×5, first 2 shown]
	v_sub_f16_e32 v55, v5, v11
	v_sub_f16_e32 v65, v1, v15
	v_add_f16_e32 v55, v65, v55
	v_add_f16_e32 v65, v15, v11
	v_fma_f16 v65, v65, -0.5, v17
	v_fma_f16 v66, v64, s16, v65
	v_fma_f16 v64, v64, s3, v65
	;; [unrolled: 1-line block ×5, first 2 shown]
	v_sub_f16_sdwa v65, v15, v1 dst_sel:DWORD dst_unused:UNUSED_PAD src0_sel:WORD_1 src1_sel:WORD_1
	v_sub_f16_sdwa v66, v11, v5 dst_sel:DWORD dst_unused:UNUSED_PAD src0_sel:WORD_1 src1_sel:WORD_1
	v_fma_f16 v55, v55, s19, v62
	v_pk_add_f16 v62, v17, v15
	v_lshrrev_b32_e32 v17, 16, v17
	v_add_f16_e32 v65, v65, v66
	v_add_f16_sdwa v66, v1, v5 dst_sel:DWORD dst_unused:UNUSED_PAD src0_sel:WORD_1 src1_sel:WORD_1
	v_fma_f16 v66, v66, -0.5, v17
	v_sub_f16_e32 v67, v15, v11
	v_fma_f16 v68, v67, s16, v66
	v_sub_f16_e32 v69, v1, v5
	v_fma_f16 v66, v67, s3, v66
	v_fma_f16 v68, v69, s18, v68
	;; [unrolled: 1-line block ×5, first 2 shown]
	v_add_f16_sdwa v66, v15, v11 dst_sel:DWORD dst_unused:UNUSED_PAD src0_sel:WORD_1 src1_sel:WORD_1
	v_fma_f16 v17, v66, -0.5, v17
	v_sub_f16_sdwa v15, v1, v15 dst_sel:DWORD dst_unused:UNUSED_PAD src0_sel:WORD_1 src1_sel:WORD_1
	v_sub_f16_sdwa v66, v5, v11 dst_sel:DWORD dst_unused:UNUSED_PAD src0_sel:WORD_1 src1_sel:WORD_1
	v_add_f16_e32 v15, v15, v66
	v_fma_f16 v66, v69, s3, v17
	v_fma_f16 v66, v67, s18, v66
	;; [unrolled: 1-line block ×5, first 2 shown]
	v_mul_f16_e32 v67, 0x3b9c, v66
	v_fma_f16 v67, v64, s19, v67
	v_mul_f16_e32 v64, 0xbb9c, v64
	v_fma_f16 v15, v15, s19, v17
	v_fma_f16 v64, v66, s19, v64
	v_mul_f16_e32 v66, 0x34f2, v55
	v_fma_f16 v66, v15, s3, -v66
	v_mul_f16_e32 v15, 0x34f2, v15
	v_fma_f16 v15, v55, s16, -v15
	;; [unrolled: 2-line block ×3, first 2 shown]
	v_add_f16_e32 v70, v14, v66
	v_sub_f16_e32 v66, v14, v66
	v_fma_f16 v14, v48, -0.5, v12
	v_add_f16_e32 v71, v10, v55
	v_sub_f16_e32 v55, v10, v55
	v_add_f16_e32 v10, v58, v6
	v_fma_f16 v6, v56, s3, v14
	v_fma_f16 v14, v56, s16, v14
	;; [unrolled: 1-line block ×6, first 2 shown]
	v_add_f16_e32 v10, v60, v8
	v_fma_f16 v8, v59, -0.5, v12
	v_fma_f16 v14, v57, s16, v8
	v_fma_f16 v8, v57, s3, v8
	v_mul_f16_e32 v17, 0x3a79, v63
	v_add_f16_e32 v73, v18, v15
	v_sub_f16_e32 v74, v18, v15
	v_fma_f16 v14, v56, s2, v14
	v_fma_f16 v15, v56, s18, v8
	;; [unrolled: 1-line block ×3, first 2 shown]
	v_mul_f16_e32 v63, 0xb8b4, v63
	v_mul_f16_e32 v65, 0x3a79, v65
	v_fma_f16 v8, v10, s19, v14
	v_fma_f16 v10, v10, s19, v15
	v_lshrrev_b32_e32 v15, 16, v12
	v_fma_f16 v63, v68, s20, v63
	v_fma_f16 v19, v19, s18, -v65
	v_add_f16_e32 v65, v26, v17
	v_sub_f16_e32 v68, v26, v17
	v_fma_f16 v17, v38, -0.5, v15
	v_fma_f16 v12, v20, s16, v17
	v_fma_f16 v17, v20, s3, v17
	v_add_f16_e32 v14, v47, v43
	v_fma_f16 v12, v45, s18, v12
	v_fma_f16 v17, v45, s2, v17
	;; [unrolled: 1-line block ×4, first 2 shown]
	v_fma_f16 v14, v22, -0.5, v15
	v_fma_f16 v17, v45, s3, v14
	v_fma_f16 v14, v45, s16, v14
	v_add_f16_e32 v15, v49, v24
	v_fma_f16 v17, v20, s18, v17
	v_fma_f16 v18, v20, s2, v14
	v_fma_f16 v16, v16, -0.5, v13
	v_fma_f16 v14, v15, s19, v17
	v_fma_f16 v15, v15, s19, v18
	;; [unrolled: 1-line block ×4, first 2 shown]
	v_add_f16_e32 v17, v36, v50
	v_fma_f16 v18, v2, s2, v18
	v_fma_f16 v16, v2, s18, v16
	v_add_f16_e32 v75, v21, v19
	v_sub_f16_e32 v76, v21, v19
	v_fma_f16 v18, v17, s19, v18
	v_fma_f16 v21, v17, s19, v16
	v_fma_f16 v17, v37, -0.5, v13
	v_fma_f16 v19, v2, s16, v17
	v_fma_f16 v2, v2, s3, v17
	v_add_f16_e32 v16, v30, v52
	v_fma_f16 v17, v33, s2, v19
	v_fma_f16 v2, v33, s18, v2
	v_lshrrev_b32_e32 v13, 16, v13
	v_fma_f16 v19, v16, s19, v17
	v_fma_f16 v2, v16, s19, v2
	v_fma_f16 v16, v28, -0.5, v13
	v_fma_f16 v20, v46, s16, v16
	v_fma_f16 v16, v46, s3, v16
	v_add_f16_e32 v17, v32, v54
	v_fma_f16 v20, v31, s18, v20
	v_fma_f16 v16, v31, s2, v16
	v_fma_f16 v13, v23, -0.5, v13
	v_fma_f16 v20, v17, s19, v20
	v_fma_f16 v22, v17, s19, v16
	;; [unrolled: 1-line block ×4, first 2 shown]
	v_add_f16_e32 v16, v29, v25
	v_fma_f16 v13, v46, s2, v13
	v_fma_f16 v17, v46, s18, v17
	;; [unrolled: 1-line block ×3, first 2 shown]
	v_mul_f16_e32 v13, 0x3a79, v18
	v_mul_f16_e32 v18, 0xb8b4, v18
	v_fma_f16 v23, v16, s19, v17
	v_fma_f16 v13, v20, s2, v13
	;; [unrolled: 1-line block ×3, first 2 shown]
	v_mul_f16_e32 v20, 0x3a79, v21
	v_mul_f16_e32 v16, 0x3b9c, v23
	v_fma_f16 v28, v22, s2, -v20
	v_mul_f16_e32 v20, 0x34f2, v24
	v_pk_add_f16 v3, v53, v3
	v_pk_add_f16 v1, v62, v1
	s_load_dwordx2 s[14:15], s[4:5], 0x8
	v_add_co_u32_e32 v92, vcc, 0x5a, v128
	v_fma_f16 v16, v19, s19, v16
	v_mul_f16_e32 v17, 0x34f2, v2
	v_mul_f16_e32 v19, 0xbb9c, v19
	v_fma_f16 v20, v2, s16, -v20
	v_mul_f16_e32 v2, 0x3a79, v22
	v_pk_add_f16 v3, v3, v7
	v_pk_add_f16 v1, v1, v5
	v_add_f16_e32 v69, v27, v67
	v_add_f16_e32 v72, v61, v63
	v_sub_f16_e32 v61, v61, v63
	v_add_f16_e32 v63, v44, v64
	v_fma_f16 v19, v23, s19, v19
	v_fma_f16 v23, v21, s18, -v2
	v_pack_b32_f16 v22, v35, v39
	v_pack_b32_f16 v21, v34, v51
	v_mul_u32_u24_e32 v7, 10, v92
	v_pk_add_f16 v3, v3, v9
	v_pk_add_f16 v1, v1, v11
	v_sub_f16_e32 v67, v27, v67
	v_sub_f16_e32 v64, v44, v64
	v_fma_f16 v17, v24, s3, -v17
	v_add_f16_e32 v26, v38, v23
	ds_write_b64 v131, v[21:22] offset:32
	v_sub_f16_e32 v137, v38, v23
	v_lshlrev_b32_e32 v135, 2, v7
	v_pk_add_f16 v21, v3, v1
	v_pack_b32_f16 v22, v65, v72
	v_pack_b32_f16 v24, v70, v73
	;; [unrolled: 1-line block ×3, first 2 shown]
	v_addc_co_u32_e64 v43, s[4:5], 0, 0, vcc
	v_add_co_u32_e32 v91, vcc, 0xb4, v128
	ds_write2_b64 v135, v[21:22], v[23:24] offset1:1
	v_pk_add_f16 v22, v3, v1 neg_lo:[0,1] neg_hi:[0,1]
	v_pack_b32_f16 v23, v68, v61
	v_pack_b32_f16 v24, v67, v64
	;; [unrolled: 1-line block ×3, first 2 shown]
	v_add_f16_e32 v25, v48, v28
	v_sub_f16_e32 v27, v6, v13
	v_sub_f16_e32 v44, v8, v16
	;; [unrolled: 1-line block ×4, first 2 shown]
	v_pk_add_f16 v2, v0, v4 neg_lo:[0,1] neg_hi:[0,1]
	v_sub_f16_e32 v32, v12, v18
	v_sub_f16_e32 v136, v14, v19
	;; [unrolled: 1-line block ×3, first 2 shown]
	ds_write2_b64 v135, v[21:22], v[23:24] offset0:2 offset1:3
	v_pack_b32_f16 v22, v55, v76
	v_pack_b32_f16 v21, v66, v74
	v_mul_u32_u24_e32 v134, 10, v91
	ds_write_b64 v135, v[21:22] offset:32
	s_and_saveexec_b64 s[2:3], s[0:1]
	s_cbranch_execz .LBB0_7
; %bb.6:
	v_add_f16_e32 v1, v15, v20
	v_add_f16_e32 v3, v14, v19
	;; [unrolled: 1-line block ×6, first 2 shown]
	v_lshlrev_b32_e32 v9, 2, v134
	v_pk_add_f16 v0, v0, v4
	v_pack_b32_f16 v4, v7, v1
	v_pack_b32_f16 v3, v8, v3
	;; [unrolled: 1-line block ×3, first 2 shown]
	s_mov_b32 s4, 0x5040100
	ds_write2_b64 v9, v[0:1], v[3:4] offset1:1
	v_perm_b32 v4, v136, v44, s4
	v_perm_b32 v3, v32, v27, s4
	;; [unrolled: 1-line block ×3, first 2 shown]
	ds_write2_b64 v9, v[1:2], v[3:4] offset0:2 offset1:3
	v_perm_b32 v1, v137, v46, s4
	v_perm_b32 v0, v138, v45, s4
	ds_write_b64 v9, v[0:1] offset:32
.LBB0_7:
	s_or_b64 exec, exec, s[2:3]
	v_add_u32_e32 v0, 0xa00, v109
	s_waitcnt lgkmcnt(0)
	s_barrier
	ds_read2_b32 v[21:22], v0 offset0:110 offset1:200
	v_add_u32_e32 v0, 0x1600, v109
	ds_read2_b32 v[23:24], v0 offset0:92 offset1:182
	v_add_u32_e32 v0, 0x200, v109
	;; [unrolled: 2-line block ×8, first 2 shown]
	v_add_u32_e32 v9, 0x1400, v109
	v_add_u32_e32 v11, 0x1e00, v109
	ds_read2_b32 v[7:8], v109 offset1:90
	ds_read2_b32 v[0:1], v0 offset0:28 offset1:118
	ds_read2_b32 v[9:10], v9 offset0:10 offset1:100
	;; [unrolled: 1-line block ×3, first 2 shown]
	v_cmp_gt_u16_e64 s[2:3], 30, v128
	s_and_saveexec_b64 s[4:5], s[2:3]
	s_cbranch_execz .LBB0_9
; %bb.8:
	ds_read_b32 v25, v109 offset:2880
	ds_read_b32 v27, v109 offset:8880
	ds_read_b32 v2, v109 offset:5880
	s_waitcnt lgkmcnt(2)
	v_lshrrev_b32_e32 v26, 16, v25
	s_waitcnt lgkmcnt(1)
	v_lshrrev_b32_e32 v32, 16, v27
.LBB0_9:
	s_or_b64 exec, exec, s[4:5]
	s_movk_i32 s4, 0x10e
	v_add_co_u32_e32 v28, vcc, s4, v128
	v_addc_co_u32_e64 v29, s[4:5], 0, 0, vcc
	s_movk_i32 s5, 0xcd
	v_mul_lo_u16_sdwa v30, v128, s5 dst_sel:DWORD dst_unused:UNUSED_PAD src0_sel:BYTE_0 src1_sel:DWORD
	v_mul_lo_u16_sdwa v31, v92, s5 dst_sel:DWORD dst_unused:UNUSED_PAD src0_sel:BYTE_0 src1_sel:DWORD
	v_lshrrev_b16_e32 v72, 11, v30
	v_lshrrev_b16_e32 v74, 11, v31
	v_mul_lo_u16_e32 v30, 10, v72
	v_mul_lo_u16_e32 v31, 10, v74
	v_sub_u16_e32 v30, v128, v30
	v_sub_u16_e32 v31, v92, v31
	v_and_b32_e32 v73, 0xff, v30
	v_and_b32_e32 v76, 0xff, v31
	v_lshlrev_b32_e32 v30, 3, v73
	v_lshlrev_b32_e32 v31, 3, v76
	s_mov_b32 s16, 0xcccd
	global_load_dwordx2 v[47:48], v30, s[14:15]
	global_load_dwordx2 v[49:50], v31, s[14:15]
	v_mul_u32_u24_sdwa v31, v91, s16 dst_sel:DWORD dst_unused:UNUSED_PAD src0_sel:WORD_0 src1_sel:DWORD
	v_lshrrev_b32_e32 v77, 19, v31
	v_mul_lo_u16_e32 v31, 10, v77
	v_sub_u16_e32 v78, v91, v31
	v_lshlrev_b16_e32 v31, 1, v78
	v_lshlrev_b32_e32 v31, 2, v31
	global_load_dwordx2 v[51:52], v31, s[14:15]
	v_mul_u32_u24_sdwa v31, v28, s16 dst_sel:DWORD dst_unused:UNUSED_PAD src0_sel:WORD_0 src1_sel:DWORD
	v_lshrrev_b32_e32 v79, 19, v31
	v_mul_lo_u16_e32 v31, 10, v79
	v_sub_u16_e32 v80, v28, v31
	s_movk_i32 s4, 0x168
	v_lshlrev_b16_e32 v31, 1, v80
	v_add_co_u32_e32 v30, vcc, s4, v128
	v_lshlrev_b32_e32 v31, 2, v31
	global_load_dwordx2 v[53:54], v31, s[14:15]
	v_mul_u32_u24_sdwa v31, v30, s16 dst_sel:DWORD dst_unused:UNUSED_PAD src0_sel:WORD_0 src1_sel:DWORD
	v_lshrrev_b32_e32 v82, 19, v31
	v_mul_lo_u16_e32 v31, 10, v82
	v_sub_u16_e32 v83, v30, v31
	v_lshlrev_b16_e32 v31, 1, v83
	v_lshlrev_b32_e32 v31, 2, v31
	v_add_u16_e32 v75, 0x1c2, v128
	global_load_dwordx2 v[57:58], v31, s[14:15]
	v_mul_u32_u24_e32 v31, 0xcccd, v75
	v_lshrrev_b32_e32 v84, 19, v31
	v_mul_lo_u16_e32 v31, 10, v84
	v_sub_u16_e32 v85, v75, v31
	s_movk_i32 s4, 0x21c
	v_lshlrev_b16_e32 v31, 1, v85
	v_lshlrev_b32_e32 v31, 2, v31
	v_add_co_u32_e64 v65, s[4:5], s4, v128
	global_load_dwordx2 v[55:56], v31, s[14:15]
	v_mul_u32_u24_sdwa v31, v65, s16 dst_sel:DWORD dst_unused:UNUSED_PAD src0_sel:WORD_0 src1_sel:DWORD
	v_lshrrev_b32_e32 v86, 19, v31
	v_mul_lo_u16_e32 v31, 10, v86
	v_sub_u16_e32 v87, v65, v31
	v_lshlrev_b16_e32 v31, 1, v87
	v_lshlrev_b32_e32 v31, 2, v31
	v_add_u16_e32 v81, 0x276, v128
	global_load_dwordx2 v[59:60], v31, s[14:15]
	v_mul_u32_u24_e32 v31, 0xcccd, v81
	v_lshrrev_b32_e32 v88, 19, v31
	v_mul_lo_u16_e32 v31, 10, v88
	v_sub_u16_e32 v89, v81, v31
	v_lshlrev_b16_e32 v31, 1, v89
	v_lshlrev_b32_e32 v31, 2, v31
	v_add_u16_e32 v66, 0x2d0, v128
	global_load_dwordx2 v[61:62], v31, s[14:15]
	v_mul_u32_u24_e32 v31, 0xcccd, v66
	v_lshrrev_b32_e32 v132, 19, v31
	v_mul_lo_u16_e32 v31, 10, v132
	v_sub_u16_e32 v133, v66, v31
	v_lshlrev_b16_e32 v31, 1, v133
	v_lshlrev_b32_e32 v31, 2, v31
	global_load_dwordx2 v[63:64], v31, s[14:15]
	s_waitcnt lgkmcnt(11)
	v_lshrrev_b32_e32 v34, 16, v21
	s_waitcnt lgkmcnt(10)
	v_lshrrev_b32_e32 v35, 16, v23
	v_lshrrev_b32_e32 v37, 16, v22
	v_lshrrev_b32_e32 v38, 16, v24
	s_waitcnt lgkmcnt(8)
	v_lshrrev_b32_e32 v67, 16, v17
	s_waitcnt lgkmcnt(7)
	v_lshrrev_b32_e32 v68, 16, v19
	v_lshrrev_b32_e32 v70, 16, v18
	v_lshrrev_b32_e32 v71, 16, v20
	;; [unrolled: 6-line block ×4, first 2 shown]
	v_addc_co_u32_e64 v31, s[4:5], 0, 0, vcc
	v_lshrrev_b32_e32 v33, 16, v7
	s_movk_i32 s4, 0x3aee
	s_waitcnt vmcnt(8)
	v_mul_f16_sdwa v104, v34, v47 dst_sel:DWORD dst_unused:UNUSED_PAD src0_sel:DWORD src1_sel:WORD_1
	v_fma_f16 v104, v21, v47, -v104
	v_mul_f16_sdwa v21, v21, v47 dst_sel:DWORD dst_unused:UNUSED_PAD src0_sel:DWORD src1_sel:WORD_1
	v_fma_f16 v21, v34, v47, v21
	v_mul_f16_sdwa v34, v35, v48 dst_sel:DWORD dst_unused:UNUSED_PAD src0_sel:DWORD src1_sel:WORD_1
	v_fma_f16 v34, v23, v48, -v34
	v_mul_f16_sdwa v23, v23, v48 dst_sel:DWORD dst_unused:UNUSED_PAD src0_sel:DWORD src1_sel:WORD_1
	v_fma_f16 v23, v35, v48, v23
	s_waitcnt vmcnt(7)
	v_mul_f16_sdwa v35, v37, v49 dst_sel:DWORD dst_unused:UNUSED_PAD src0_sel:DWORD src1_sel:WORD_1
	v_fma_f16 v35, v22, v49, -v35
	v_mul_f16_sdwa v22, v22, v49 dst_sel:DWORD dst_unused:UNUSED_PAD src0_sel:DWORD src1_sel:WORD_1
	v_fma_f16 v22, v37, v49, v22
	v_mul_f16_sdwa v37, v38, v50 dst_sel:DWORD dst_unused:UNUSED_PAD src0_sel:DWORD src1_sel:WORD_1
	v_fma_f16 v37, v24, v50, -v37
	v_mul_f16_sdwa v24, v24, v50 dst_sel:DWORD dst_unused:UNUSED_PAD src0_sel:DWORD src1_sel:WORD_1
	v_fma_f16 v24, v38, v50, v24
	;; [unrolled: 9-line block ×7, first 2 shown]
	s_waitcnt vmcnt(1)
	v_mul_f16_sdwa v9, v102, v61 dst_sel:DWORD dst_unused:UNUSED_PAD src0_sel:DWORD src1_sel:WORD_1
	v_fma_f16 v106, v10, v61, -v9
	v_mul_f16_sdwa v9, v10, v61 dst_sel:DWORD dst_unused:UNUSED_PAD src0_sel:DWORD src1_sel:WORD_1
	v_fma_f16 v102, v102, v61, v9
	v_mul_f16_sdwa v9, v103, v62 dst_sel:DWORD dst_unused:UNUSED_PAD src0_sel:DWORD src1_sel:WORD_1
	v_fma_f16 v107, v12, v62, -v9
	v_mul_f16_sdwa v9, v12, v62 dst_sel:DWORD dst_unused:UNUSED_PAD src0_sel:DWORD src1_sel:WORD_1
	v_lshrrev_b32_e32 v10, 16, v2
	v_fma_f16 v12, v103, v62, v9
	s_waitcnt vmcnt(0)
	v_mul_f16_sdwa v9, v10, v63 dst_sel:DWORD dst_unused:UNUSED_PAD src0_sel:DWORD src1_sel:WORD_1
	v_fma_f16 v9, v2, v63, -v9
	v_mul_f16_sdwa v2, v2, v63 dst_sel:DWORD dst_unused:UNUSED_PAD src0_sel:DWORD src1_sel:WORD_1
	v_mul_f16_sdwa v11, v27, v64 dst_sel:DWORD dst_unused:UNUSED_PAD src0_sel:DWORD src1_sel:WORD_1
	v_fma_f16 v10, v10, v63, v2
	v_mul_f16_sdwa v2, v32, v64 dst_sel:DWORD dst_unused:UNUSED_PAD src0_sel:DWORD src1_sel:WORD_1
	v_fma_f16 v11, v32, v64, v11
	v_add_f16_e32 v32, v104, v34
	v_fma_f16 v2, v27, v64, -v2
	v_add_f16_e32 v27, v7, v104
	v_fma_f16 v7, v32, -0.5, v7
	v_sub_f16_e32 v32, v21, v23
	s_mov_b32 s5, 0xbaee
	v_fma_f16 v103, v32, s4, v7
	v_fma_f16 v7, v32, s5, v7
	v_add_f16_e32 v32, v33, v21
	v_add_f16_e32 v21, v21, v23
	;; [unrolled: 1-line block ×4, first 2 shown]
	v_fma_f16 v21, v21, -0.5, v33
	v_sub_f16_e32 v23, v104, v34
	v_add_f16_e32 v34, v35, v37
	v_lshrrev_b32_e32 v36, 16, v8
	v_fma_f16 v33, v23, s5, v21
	v_fma_f16 v21, v23, s4, v21
	v_add_f16_e32 v23, v8, v35
	v_fma_f16 v8, v34, -0.5, v8
	v_sub_f16_e32 v34, v22, v24
	v_fma_f16 v104, v34, s4, v8
	v_fma_f16 v8, v34, s5, v8
	v_add_f16_e32 v34, v36, v22
	v_add_f16_e32 v22, v22, v24
	v_add_f16_e32 v34, v34, v24
	v_fma_f16 v22, v22, -0.5, v36
	v_sub_f16_e32 v24, v35, v37
	v_add_f16_e32 v36, v38, v67
	v_lshrrev_b32_e32 v39, 16, v5
	v_fma_f16 v35, v24, s5, v22
	v_fma_f16 v22, v24, s4, v22
	v_add_f16_e32 v24, v5, v38
	v_fma_f16 v5, v36, -0.5, v5
	v_sub_f16_e32 v36, v17, v19
	v_add_f16_e32 v23, v23, v37
	v_fma_f16 v37, v36, s4, v5
	v_fma_f16 v5, v36, s5, v5
	v_add_f16_e32 v36, v39, v17
	v_add_f16_e32 v17, v17, v19
	v_add_f16_e32 v36, v36, v19
	v_fma_f16 v17, v17, -0.5, v39
	v_sub_f16_e32 v19, v38, v67
	v_add_f16_e32 v39, v68, v70
	v_lshrrev_b32_e32 v69, 16, v6
	v_fma_f16 v38, v19, s5, v17
	v_fma_f16 v17, v19, s4, v17
	v_add_f16_e32 v19, v6, v68
	v_fma_f16 v6, v39, -0.5, v6
	v_sub_f16_e32 v39, v18, v20
	v_add_f16_e32 v24, v24, v67
	;; [unrolled: 15-line block ×3, first 2 shown]
	v_fma_f16 v70, v69, s4, v3
	v_fma_f16 v3, v69, s5, v3
	v_add_f16_e32 v69, v90, v13
	v_add_f16_e32 v13, v13, v15
	v_mul_u32_u24_e32 v72, 30, v72
	v_add_f16_e32 v69, v69, v15
	v_fma_f16 v13, v13, -0.5, v90
	v_sub_f16_e32 v15, v71, v93
	v_add_f16_e32 v90, v94, v96
	v_add_lshl_u32 v139, v72, v73, 2
	v_pack_b32_f16 v7, v7, v21
	v_lshrrev_b32_e32 v95, 16, v4
	v_fma_f16 v71, v15, s5, v13
	v_fma_f16 v13, v15, s4, v13
	v_add_f16_e32 v15, v4, v94
	v_fma_f16 v4, v90, -0.5, v4
	v_sub_f16_e32 v90, v14, v16
	s_barrier
	ds_write_b32 v139, v7 offset:80
	v_mul_u32_u24_e32 v7, 30, v74
	v_fma_f16 v108, v90, s4, v4
	v_fma_f16 v4, v90, s5, v4
	v_add_f16_e32 v90, v95, v14
	v_add_f16_e32 v14, v14, v16
	v_pack_b32_f16 v27, v27, v32
	v_pack_b32_f16 v32, v103, v33
	v_add_lshl_u32 v140, v7, v76, 2
	v_pack_b32_f16 v7, v23, v34
	v_pack_b32_f16 v21, v104, v35
	v_add_f16_e32 v20, v20, v93
	v_add_f16_e32 v90, v90, v16
	v_fma_f16 v14, v14, -0.5, v95
	v_sub_f16_e32 v16, v94, v96
	v_add_f16_e32 v93, v97, v105
	ds_write2_b32 v139, v27, v32 offset1:10
	ds_write2_b32 v140, v7, v21 offset1:10
	v_pack_b32_f16 v7, v8, v22
	v_lshrrev_b32_e32 v98, 16, v0
	v_fma_f16 v145, v16, s5, v14
	v_fma_f16 v14, v16, s4, v14
	v_add_f16_e32 v16, v0, v97
	v_fma_f16 v0, v93, -0.5, v0
	v_sub_f16_e32 v93, v99, v100
	ds_write_b32 v140, v7 offset:80
	v_mad_legacy_u16 v7, v77, 30, v78
	v_fma_f16 v146, v93, s4, v0
	v_fma_f16 v0, v93, s5, v0
	v_add_f16_e32 v93, v98, v99
	v_lshlrev_b32_e32 v141, 2, v7
	v_pack_b32_f16 v5, v5, v17
	v_add_f16_e32 v147, v93, v100
	v_add_f16_e32 v93, v99, v100
	v_pack_b32_f16 v7, v24, v36
	v_pack_b32_f16 v8, v37, v38
	ds_write_b32 v141, v5 offset:80
	v_mad_legacy_u16 v5, v79, 30, v80
	v_fma_f16 v93, v93, -0.5, v98
	v_sub_f16_e32 v94, v97, v105
	ds_write2_b32 v141, v7, v8 offset1:10
	v_lshlrev_b32_e32 v142, 2, v5
	v_pack_b32_f16 v5, v19, v39
	v_pack_b32_f16 v7, v67, v68
	v_fma_f16 v97, v94, s5, v93
	v_fma_f16 v98, v94, s4, v93
	v_add_f16_e32 v93, v1, v106
	ds_write2_b32 v142, v5, v7 offset1:10
	v_pack_b32_f16 v5, v6, v18
	v_add_f16_e32 v99, v93, v107
	v_add_f16_e32 v93, v106, v107
	ds_write_b32 v142, v5 offset:80
	v_mad_legacy_u16 v5, v82, 30, v83
	v_lshrrev_b32_e32 v101, 16, v1
	v_fma_f16 v1, v93, -0.5, v1
	v_sub_f16_e32 v93, v102, v12
	v_lshlrev_b32_e32 v143, 2, v5
	v_pack_b32_f16 v3, v3, v13
	v_add_f16_e32 v15, v15, v96
	v_fma_f16 v100, v93, s4, v1
	v_fma_f16 v1, v93, s5, v1
	v_add_f16_e32 v93, v101, v102
	v_pack_b32_f16 v5, v20, v69
	v_pack_b32_f16 v6, v70, v71
	ds_write_b32 v143, v3 offset:80
	v_mad_legacy_u16 v3, v84, 30, v85
	v_add_f16_e32 v16, v16, v105
	v_add_f16_e32 v105, v93, v12
	;; [unrolled: 1-line block ×3, first 2 shown]
	ds_write2_b32 v143, v5, v6 offset1:10
	v_lshlrev_b32_e32 v144, 2, v3
	v_pack_b32_f16 v3, v15, v90
	v_pack_b32_f16 v5, v108, v145
	v_fma_f16 v12, v12, -0.5, v101
	v_sub_f16_e32 v93, v106, v107
	ds_write2_b32 v144, v3, v5 offset1:10
	v_pack_b32_f16 v3, v4, v14
	v_fma_f16 v101, v93, s5, v12
	v_fma_f16 v12, v93, s4, v12
	v_add_f16_e32 v93, v9, v2
	ds_write_b32 v144, v3 offset:80
	v_mad_legacy_u16 v3, v86, 30, v87
	v_fma_f16 v94, v93, -0.5, v25
	v_sub_f16_e32 v95, v10, v11
	v_lshlrev_b32_e32 v145, 2, v3
	v_pack_b32_f16 v0, v0, v98
	v_fma_f16 v93, v95, s4, v94
	v_fma_f16 v94, v95, s5, v94
	v_add_f16_e32 v95, v10, v11
	v_pack_b32_f16 v3, v16, v147
	v_pack_b32_f16 v4, v146, v97
	ds_write_b32 v145, v0 offset:80
	v_mad_legacy_u16 v0, v88, 30, v89
	v_fma_f16 v95, v95, -0.5, v26
	v_sub_f16_e32 v102, v9, v2
	ds_write2_b32 v145, v3, v4 offset1:10
	v_lshlrev_b32_e32 v146, 2, v0
	v_pack_b32_f16 v0, v99, v105
	v_pack_b32_f16 v3, v100, v101
	v_fma_f16 v96, v102, s5, v95
	v_fma_f16 v95, v102, s4, v95
	ds_write2_b32 v146, v0, v3 offset1:10
	v_pack_b32_f16 v0, v1, v12
	ds_write_b32 v146, v0 offset:80
	s_and_saveexec_b64 s[4:5], s[2:3]
	s_cbranch_execz .LBB0_11
; %bb.10:
	v_add_f16_e32 v0, v26, v10
	v_add_f16_e32 v1, v25, v9
	;; [unrolled: 1-line block ×4, first 2 shown]
	v_mad_legacy_u16 v2, v132, 30, v133
	s_mov_b32 s16, 0x5040100
	v_lshlrev_b32_e32 v2, 2, v2
	v_pack_b32_f16 v0, v1, v0
	v_perm_b32 v1, v96, v93, s16
	ds_write2_b32 v2, v0, v1 offset1:10
	v_perm_b32 v0, v95, v94, s16
	ds_write_b32 v2, v0 offset:80
.LBB0_11:
	s_or_b64 exec, exec, s[4:5]
	v_add_u32_e32 v0, 0x1200, v109
	s_movk_i32 s4, 0x89
	s_waitcnt lgkmcnt(0)
	s_barrier
	ds_read2_b32 v[67:68], v0 offset0:108 offset1:198
	v_mul_lo_u16_sdwa v0, v128, s4 dst_sel:DWORD dst_unused:UNUSED_PAD src0_sel:BYTE_0 src1_sel:DWORD
	v_lshrrev_b16_e32 v25, 12, v0
	v_mul_lo_u16_e32 v0, 30, v25
	v_sub_u16_e32 v0, v128, v0
	v_and_b32_e32 v26, 0xff, v0
	v_lshlrev_b32_e32 v0, 4, v26
	global_load_dwordx4 v[0:3], v0, s[14:15] offset:80
	v_mul_lo_u16_sdwa v4, v92, s4 dst_sel:DWORD dst_unused:UNUSED_PAD src0_sel:BYTE_0 src1_sel:DWORD
	v_lshrrev_b16_e32 v99, 12, v4
	v_mul_lo_u16_e32 v4, 30, v99
	v_sub_u16_e32 v4, v92, v4
	v_and_b32_e32 v100, 0xff, v4
	v_lshlrev_b32_e32 v4, 4, v100
	global_load_dwordx4 v[4:7], v4, s[14:15] offset:80
	s_mov_b32 s4, 0x8889
	v_mul_u32_u24_sdwa v8, v91, s4 dst_sel:DWORD dst_unused:UNUSED_PAD src0_sel:WORD_0 src1_sel:DWORD
	v_lshrrev_b32_e32 v101, 20, v8
	v_mul_lo_u16_e32 v8, 30, v101
	v_sub_u16_e32 v102, v91, v8
	v_lshlrev_b16_e32 v8, 4, v102
	v_mov_b32_e32 v17, s15
	v_add_co_u32_e32 v8, vcc, s14, v8
	v_addc_co_u32_e32 v9, vcc, 0, v17, vcc
	global_load_dwordx4 v[8:11], v[8:9], off offset:80
	v_mul_u32_u24_sdwa v12, v28, s4 dst_sel:DWORD dst_unused:UNUSED_PAD src0_sel:WORD_0 src1_sel:DWORD
	v_lshrrev_b32_e32 v107, 20, v12
	v_mul_lo_u16_e32 v12, 30, v107
	v_sub_u16_e32 v108, v28, v12
	v_lshlrev_b16_e32 v12, 4, v108
	v_add_co_u32_e32 v12, vcc, s14, v12
	v_addc_co_u32_e32 v13, vcc, 0, v17, vcc
	global_load_dwordx4 v[12:15], v[12:13], off offset:80
	v_mul_u32_u24_sdwa v16, v30, s4 dst_sel:DWORD dst_unused:UNUSED_PAD src0_sel:WORD_0 src1_sel:DWORD
	v_lshrrev_b32_e32 v151, 20, v16
	v_mul_lo_u16_e32 v16, 30, v151
	v_sub_u16_e32 v154, v30, v16
	v_lshlrev_b16_e32 v16, 4, v154
	v_add_co_u32_e32 v16, vcc, s14, v16
	v_addc_co_u32_e32 v17, vcc, 0, v17, vcc
	global_load_dwordx4 v[16:19], v[16:17], off offset:80
	v_add_u32_e32 v22, 0x400, v109
	ds_read2_b32 v[20:21], v22 offset0:104 offset1:194
	v_add_u32_e32 v23, 0xc00, v109
	ds_read2_b32 v[38:39], v23 offset0:132 offset1:222
	;; [unrolled: 2-line block ×3, first 2 shown]
	s_waitcnt lgkmcnt(2)
	v_lshrrev_b32_e32 v80, 16, v21
	v_add_u32_e32 v32, 0x800, v109
	s_waitcnt lgkmcnt(1)
	v_lshrrev_b32_e32 v88, 16, v38
	ds_read2_b32 v[71:72], v32 offset0:28 offset1:118
	v_lshrrev_b32_e32 v89, 16, v68
	s_waitcnt lgkmcnt(1)
	v_lshrrev_b32_e32 v90, 16, v69
	v_add_u32_e32 v34, 0x1400, v109
	ds_read2_b32 v[73:74], v34 offset0:160 offset1:250
	s_waitcnt lgkmcnt(1)
	v_lshrrev_b32_e32 v98, 16, v71
	v_lshrrev_b32_e32 v103, 16, v39
	v_add_u32_e32 v35, 0x1000, v109
	ds_read2_b32 v[78:79], v35 offset0:56 offset1:146
	s_waitcnt lgkmcnt(1)
	v_lshrrev_b32_e32 v104, 16, v73
	v_lshrrev_b32_e32 v105, 16, v70
	;; [unrolled: 1-line block ×3, first 2 shown]
	v_add_u32_e32 v152, 0x1e00, v109
	ds_read2_b32 v[82:83], v152 offset0:60 offset1:150
	s_waitcnt lgkmcnt(1)
	v_lshrrev_b32_e32 v148, 16, v78
	v_add_u32_e32 v153, 0xa00, v109
	ds_read2_b32 v[84:85], v153 offset0:80 offset1:170
	v_lshrrev_b32_e32 v149, 16, v74
	v_add_u32_e32 v155, 0x1800, v109
	s_waitcnt lgkmcnt(1)
	v_lshrrev_b32_e32 v150, 16, v82
	ds_read2_b32 v[86:87], v155 offset0:84 offset1:174
	s_waitcnt lgkmcnt(1)
	v_lshrrev_b32_e32 v157, 16, v84
	v_lshrrev_b32_e32 v158, 16, v79
	;; [unrolled: 1-line block ×4, first 2 shown]
	s_waitcnt lgkmcnt(0)
	v_lshrrev_b32_e32 v159, 16, v86
	ds_read2_b32 v[36:37], v109 offset1:90
	ds_read_b32 v161, v109 offset:8640
	v_lshrrev_b32_e32 v164, 16, v67
	v_lshrrev_b32_e32 v165, 16, v87
	s_movk_i32 s5, 0x3b9c
	s_waitcnt vmcnt(4)
	v_mul_f16_sdwa v167, v80, v0 dst_sel:DWORD dst_unused:UNUSED_PAD src0_sel:DWORD src1_sel:WORD_1
	v_fma_f16 v167, v21, v0, -v167
	v_mul_f16_sdwa v21, v21, v0 dst_sel:DWORD dst_unused:UNUSED_PAD src0_sel:DWORD src1_sel:WORD_1
	v_fma_f16 v21, v80, v0, v21
	v_mul_f16_sdwa v80, v88, v1 dst_sel:DWORD dst_unused:UNUSED_PAD src0_sel:DWORD src1_sel:WORD_1
	v_fma_f16 v80, v38, v1, -v80
	v_mul_f16_sdwa v38, v38, v1 dst_sel:DWORD dst_unused:UNUSED_PAD src0_sel:DWORD src1_sel:WORD_1
	v_fma_f16 v38, v88, v1, v38
	v_mul_f16_sdwa v88, v89, v2 dst_sel:DWORD dst_unused:UNUSED_PAD src0_sel:DWORD src1_sel:WORD_1
	v_fma_f16 v88, v68, v2, -v88
	v_mul_f16_sdwa v68, v68, v2 dst_sel:DWORD dst_unused:UNUSED_PAD src0_sel:DWORD src1_sel:WORD_1
	v_fma_f16 v68, v89, v2, v68
	v_mul_f16_sdwa v89, v90, v3 dst_sel:DWORD dst_unused:UNUSED_PAD src0_sel:DWORD src1_sel:WORD_1
	v_fma_f16 v89, v69, v3, -v89
	v_mul_f16_sdwa v69, v69, v3 dst_sel:DWORD dst_unused:UNUSED_PAD src0_sel:DWORD src1_sel:WORD_1
	v_fma_f16 v69, v90, v3, v69
	s_waitcnt vmcnt(3)
	v_mul_f16_sdwa v90, v98, v4 dst_sel:DWORD dst_unused:UNUSED_PAD src0_sel:DWORD src1_sel:WORD_1
	v_fma_f16 v90, v71, v4, -v90
	v_mul_f16_sdwa v71, v71, v4 dst_sel:DWORD dst_unused:UNUSED_PAD src0_sel:DWORD src1_sel:WORD_1
	v_fma_f16 v71, v98, v4, v71
	v_mul_f16_sdwa v98, v103, v5 dst_sel:DWORD dst_unused:UNUSED_PAD src0_sel:DWORD src1_sel:WORD_1
	v_fma_f16 v98, v39, v5, -v98
	v_mul_f16_sdwa v39, v39, v5 dst_sel:DWORD dst_unused:UNUSED_PAD src0_sel:DWORD src1_sel:WORD_1
	v_fma_f16 v39, v103, v5, v39
	v_mul_f16_sdwa v103, v104, v6 dst_sel:DWORD dst_unused:UNUSED_PAD src0_sel:DWORD src1_sel:WORD_1
	v_fma_f16 v103, v73, v6, -v103
	v_mul_f16_sdwa v73, v73, v6 dst_sel:DWORD dst_unused:UNUSED_PAD src0_sel:DWORD src1_sel:WORD_1
	v_fma_f16 v73, v104, v6, v73
	v_mul_f16_sdwa v104, v105, v7 dst_sel:DWORD dst_unused:UNUSED_PAD src0_sel:DWORD src1_sel:WORD_1
	v_fma_f16 v104, v70, v7, -v104
	v_mul_f16_sdwa v70, v70, v7 dst_sel:DWORD dst_unused:UNUSED_PAD src0_sel:DWORD src1_sel:WORD_1
	v_fma_f16 v70, v105, v7, v70
	s_waitcnt vmcnt(2)
	v_mul_f16_sdwa v105, v147, v8 dst_sel:DWORD dst_unused:UNUSED_PAD src0_sel:DWORD src1_sel:WORD_1
	v_fma_f16 v105, v72, v8, -v105
	v_mul_f16_sdwa v72, v72, v8 dst_sel:DWORD dst_unused:UNUSED_PAD src0_sel:DWORD src1_sel:WORD_1
	v_fma_f16 v72, v147, v8, v72
	v_mul_f16_sdwa v147, v148, v9 dst_sel:DWORD dst_unused:UNUSED_PAD src0_sel:DWORD src1_sel:WORD_1
	v_fma_f16 v147, v78, v9, -v147
	v_mul_f16_sdwa v78, v78, v9 dst_sel:DWORD dst_unused:UNUSED_PAD src0_sel:DWORD src1_sel:WORD_1
	v_fma_f16 v78, v148, v9, v78
	v_mul_f16_sdwa v148, v149, v10 dst_sel:DWORD dst_unused:UNUSED_PAD src0_sel:DWORD src1_sel:WORD_1
	v_fma_f16 v148, v74, v10, -v148
	v_mul_f16_sdwa v74, v74, v10 dst_sel:DWORD dst_unused:UNUSED_PAD src0_sel:DWORD src1_sel:WORD_1
	v_fma_f16 v74, v149, v10, v74
	v_mul_f16_sdwa v149, v150, v11 dst_sel:DWORD dst_unused:UNUSED_PAD src0_sel:DWORD src1_sel:WORD_1
	v_fma_f16 v149, v82, v11, -v149
	v_mul_f16_sdwa v82, v82, v11 dst_sel:DWORD dst_unused:UNUSED_PAD src0_sel:DWORD src1_sel:WORD_1
	v_fma_f16 v82, v150, v11, v82
	s_waitcnt vmcnt(1)
	v_mul_f16_sdwa v150, v157, v12 dst_sel:DWORD dst_unused:UNUSED_PAD src0_sel:DWORD src1_sel:WORD_1
	v_fma_f16 v150, v84, v12, -v150
	v_mul_f16_sdwa v84, v84, v12 dst_sel:DWORD dst_unused:UNUSED_PAD src0_sel:DWORD src1_sel:WORD_1
	v_fma_f16 v84, v157, v12, v84
	v_mul_f16_sdwa v157, v158, v13 dst_sel:DWORD dst_unused:UNUSED_PAD src0_sel:DWORD src1_sel:WORD_1
	v_fma_f16 v157, v79, v13, -v157
	v_mul_f16_sdwa v79, v79, v13 dst_sel:DWORD dst_unused:UNUSED_PAD src0_sel:DWORD src1_sel:WORD_1
	v_fma_f16 v79, v158, v13, v79
	v_mul_f16_sdwa v158, v159, v14 dst_sel:DWORD dst_unused:UNUSED_PAD src0_sel:DWORD src1_sel:WORD_1
	v_fma_f16 v158, v86, v14, -v158
	v_mul_f16_sdwa v86, v86, v14 dst_sel:DWORD dst_unused:UNUSED_PAD src0_sel:DWORD src1_sel:WORD_1
	v_fma_f16 v86, v159, v14, v86
	v_mul_f16_sdwa v159, v160, v15 dst_sel:DWORD dst_unused:UNUSED_PAD src0_sel:DWORD src1_sel:WORD_1
	v_fma_f16 v159, v83, v15, -v159
	v_mul_f16_sdwa v83, v83, v15 dst_sel:DWORD dst_unused:UNUSED_PAD src0_sel:DWORD src1_sel:WORD_1
	v_fma_f16 v83, v160, v15, v83
	s_waitcnt vmcnt(0)
	v_mul_f16_sdwa v160, v163, v16 dst_sel:DWORD dst_unused:UNUSED_PAD src0_sel:DWORD src1_sel:WORD_1
	v_fma_f16 v160, v85, v16, -v160
	v_mul_f16_sdwa v85, v85, v16 dst_sel:DWORD dst_unused:UNUSED_PAD src0_sel:DWORD src1_sel:WORD_1
	v_fma_f16 v85, v163, v16, v85
	v_mul_f16_sdwa v163, v164, v17 dst_sel:DWORD dst_unused:UNUSED_PAD src0_sel:DWORD src1_sel:WORD_1
	v_fma_f16 v163, v67, v17, -v163
	v_mul_f16_sdwa v67, v67, v17 dst_sel:DWORD dst_unused:UNUSED_PAD src0_sel:DWORD src1_sel:WORD_1
	v_fma_f16 v67, v164, v17, v67
	v_mul_f16_sdwa v164, v165, v18 dst_sel:DWORD dst_unused:UNUSED_PAD src0_sel:DWORD src1_sel:WORD_1
	v_add_f16_e32 v168, v80, v88
	s_waitcnt lgkmcnt(0)
	v_lshrrev_b32_e32 v166, 16, v161
	v_fma_f16 v164, v87, v18, -v164
	v_mul_f16_sdwa v87, v87, v18 dst_sel:DWORD dst_unused:UNUSED_PAD src0_sel:DWORD src1_sel:WORD_1
	v_fma_f16 v168, v168, -0.5, v36
	v_sub_f16_e32 v169, v21, v69
	s_mov_b32 s18, 0xbb9c
	v_fma_f16 v87, v165, v18, v87
	v_mul_f16_sdwa v165, v166, v19 dst_sel:DWORD dst_unused:UNUSED_PAD src0_sel:DWORD src1_sel:WORD_1
	v_fma_f16 v170, v169, s5, v168
	v_sub_f16_e32 v171, v38, v68
	s_movk_i32 s4, 0x38b4
	v_sub_f16_e32 v172, v167, v80
	v_sub_f16_e32 v173, v89, v88
	v_fma_f16 v168, v169, s18, v168
	s_mov_b32 s19, 0xb8b4
	v_fma_f16 v165, v161, v19, -v165
	v_mul_f16_sdwa v161, v161, v19 dst_sel:DWORD dst_unused:UNUSED_PAD src0_sel:DWORD src1_sel:WORD_1
	v_fma_f16 v170, v171, s4, v170
	v_add_f16_e32 v172, v172, v173
	s_movk_i32 s16, 0x34f2
	v_fma_f16 v168, v171, s19, v168
	v_fma_f16 v161, v166, v19, v161
	v_add_f16_e32 v166, v36, v167
	v_fma_f16 v170, v172, s16, v170
	v_fma_f16 v168, v172, s16, v168
	v_add_f16_e32 v172, v167, v89
	v_lshrrev_b32_e32 v27, 16, v36
	v_add_f16_e32 v166, v166, v80
	v_fma_f16 v36, v172, -0.5, v36
	v_add_f16_e32 v166, v166, v88
	v_fma_f16 v172, v171, s18, v36
	v_fma_f16 v36, v171, s5, v36
	v_add_f16_e32 v171, v38, v68
	v_add_f16_e32 v166, v166, v89
	v_sub_f16_e32 v173, v80, v167
	v_sub_f16_e32 v174, v88, v89
	v_fma_f16 v171, v171, -0.5, v27
	v_sub_f16_e32 v89, v167, v89
	v_fma_f16 v172, v169, s4, v172
	v_add_f16_e32 v173, v173, v174
	v_fma_f16 v36, v169, s19, v36
	v_fma_f16 v167, v89, s18, v171
	v_sub_f16_e32 v80, v80, v88
	v_fma_f16 v172, v173, s16, v172
	v_fma_f16 v36, v173, s16, v36
	;; [unrolled: 1-line block ×3, first 2 shown]
	v_sub_f16_e32 v167, v21, v38
	v_sub_f16_e32 v173, v69, v68
	v_fma_f16 v171, v89, s5, v171
	v_add_f16_e32 v167, v167, v173
	v_fma_f16 v171, v80, s4, v171
	v_add_f16_e32 v169, v27, v21
	v_fma_f16 v88, v167, s16, v88
	v_fma_f16 v167, v167, s16, v171
	v_add_f16_e32 v171, v21, v69
	v_add_f16_e32 v169, v169, v38
	v_fma_f16 v27, v171, -0.5, v27
	v_add_f16_e32 v169, v169, v68
	v_fma_f16 v171, v80, s5, v27
	v_sub_f16_e32 v21, v38, v21
	v_sub_f16_e32 v38, v68, v69
	v_add_f16_e32 v68, v98, v103
	v_add_f16_e32 v169, v169, v69
	v_fma_f16 v171, v89, s19, v171
	v_add_f16_e32 v21, v21, v38
	v_fma_f16 v27, v80, s18, v27
	v_fma_f16 v68, v68, -0.5, v37
	v_sub_f16_e32 v69, v71, v70
	v_fma_f16 v38, v21, s16, v171
	v_fma_f16 v27, v89, s4, v27
	;; [unrolled: 1-line block ×3, first 2 shown]
	v_sub_f16_e32 v89, v39, v73
	v_sub_f16_e32 v171, v90, v98
	;; [unrolled: 1-line block ×3, first 2 shown]
	v_fma_f16 v68, v69, s18, v68
	v_fma_f16 v80, v89, s4, v80
	v_add_f16_e32 v171, v171, v173
	v_fma_f16 v68, v89, s19, v68
	v_fma_f16 v80, v171, s16, v80
	;; [unrolled: 1-line block ×3, first 2 shown]
	v_add_f16_e32 v171, v90, v104
	v_lshrrev_b32_e32 v97, 16, v37
	v_fma_f16 v21, v21, s16, v27
	v_add_f16_e32 v27, v37, v90
	v_fma_f16 v37, v171, -0.5, v37
	v_add_f16_e32 v27, v27, v98
	v_fma_f16 v171, v89, s18, v37
	v_fma_f16 v37, v89, s5, v37
	v_add_f16_e32 v89, v39, v73
	v_add_f16_e32 v27, v27, v103
	v_sub_f16_e32 v173, v98, v90
	v_sub_f16_e32 v174, v103, v104
	v_fma_f16 v89, v89, -0.5, v97
	v_sub_f16_e32 v90, v90, v104
	v_add_u32_e32 v24, 0x200, v109
	v_add_f16_e32 v27, v27, v104
	v_fma_f16 v171, v69, s4, v171
	v_add_f16_e32 v173, v173, v174
	v_fma_f16 v37, v69, s19, v37
	v_fma_f16 v104, v90, s18, v89
	v_sub_f16_e32 v98, v98, v103
	ds_read2_b32 v[76:77], v24 offset0:52 offset1:142
	v_fma_f16 v171, v173, s16, v171
	v_fma_f16 v37, v173, s16, v37
	;; [unrolled: 1-line block ×3, first 2 shown]
	v_sub_f16_e32 v104, v71, v39
	v_sub_f16_e32 v173, v70, v73
	v_fma_f16 v89, v90, s5, v89
	v_add_f16_e32 v69, v97, v71
	v_add_f16_e32 v104, v104, v173
	v_fma_f16 v89, v98, s4, v89
	v_add_f16_e32 v69, v69, v39
	v_fma_f16 v103, v104, s16, v103
	v_fma_f16 v89, v104, s16, v89
	v_add_f16_e32 v104, v71, v70
	v_add_f16_e32 v69, v69, v73
	v_fma_f16 v97, v104, -0.5, v97
	v_add_f16_e32 v69, v69, v70
	v_fma_f16 v104, v98, s5, v97
	v_sub_f16_e32 v39, v39, v71
	v_sub_f16_e32 v70, v73, v70
	v_fma_f16 v71, v98, s18, v97
	v_add_f16_e32 v73, v147, v148
	v_fma_f16 v104, v90, s19, v104
	v_add_f16_e32 v39, v39, v70
	v_fma_f16 v71, v90, s4, v71
	s_waitcnt lgkmcnt(0)
	v_fma_f16 v73, v73, -0.5, v76
	v_sub_f16_e32 v90, v72, v82
	v_fma_f16 v70, v39, s16, v104
	v_fma_f16 v97, v90, s5, v73
	v_sub_f16_e32 v98, v78, v74
	v_sub_f16_e32 v104, v105, v147
	;; [unrolled: 1-line block ×3, first 2 shown]
	v_fma_f16 v97, v98, s4, v97
	v_add_f16_e32 v104, v104, v173
	v_fma_f16 v173, v104, s16, v97
	v_fma_f16 v73, v90, s18, v73
	v_add_f16_e32 v97, v105, v149
	v_lshrrev_b32_e32 v106, 16, v76
	v_fma_f16 v39, v39, s16, v71
	v_add_f16_e32 v71, v76, v105
	v_fma_f16 v73, v98, s19, v73
	v_fma_f16 v76, v97, -0.5, v76
	v_fma_f16 v73, v104, s16, v73
	v_fma_f16 v97, v98, s18, v76
	v_sub_f16_e32 v104, v147, v105
	v_sub_f16_e32 v174, v148, v149
	v_fma_f16 v97, v90, s4, v97
	v_add_f16_e32 v104, v104, v174
	v_fma_f16 v174, v104, s16, v97
	v_fma_f16 v76, v98, s5, v76
	v_add_f16_e32 v97, v78, v74
	v_add_f16_e32 v71, v71, v147
	v_fma_f16 v76, v90, s19, v76
	v_fma_f16 v97, v97, -0.5, v106
	v_sub_f16_e32 v98, v105, v149
	v_add_f16_e32 v71, v71, v148
	v_fma_f16 v76, v104, s16, v76
	v_fma_f16 v104, v98, s18, v97
	v_sub_f16_e32 v105, v147, v148
	v_sub_f16_e32 v147, v72, v78
	;; [unrolled: 1-line block ×3, first 2 shown]
	v_fma_f16 v97, v98, s5, v97
	v_add_f16_e32 v90, v106, v72
	v_add_f16_e32 v147, v147, v148
	v_fma_f16 v97, v105, s4, v97
	v_add_f16_e32 v90, v90, v78
	v_fma_f16 v175, v147, s16, v97
	v_add_f16_e32 v97, v72, v82
	v_add_f16_e32 v90, v90, v74
	v_fma_f16 v97, v97, -0.5, v106
	v_add_f16_e32 v90, v90, v82
	v_fma_f16 v106, v105, s5, v97
	v_sub_f16_e32 v72, v78, v72
	v_sub_f16_e32 v74, v74, v82
	v_add_f16_e32 v82, v157, v158
	v_fma_f16 v104, v105, s19, v104
	v_fma_f16 v106, v98, s19, v106
	v_add_f16_e32 v72, v72, v74
	v_fma_f16 v78, v105, s18, v97
	v_fma_f16 v82, v82, -0.5, v77
	v_sub_f16_e32 v97, v84, v83
	v_fma_f16 v104, v147, s16, v104
	v_fma_f16 v74, v72, s16, v106
	;; [unrolled: 1-line block ×4, first 2 shown]
	v_sub_f16_e32 v105, v79, v86
	v_sub_f16_e32 v106, v150, v157
	;; [unrolled: 1-line block ×3, first 2 shown]
	v_fma_f16 v98, v105, s4, v98
	v_add_f16_e32 v106, v106, v147
	v_fma_f16 v176, v106, s16, v98
	v_add_f16_e32 v98, v150, v159
	v_lshrrev_b32_e32 v156, 16, v77
	v_fma_f16 v72, v72, s16, v78
	v_add_f16_e32 v78, v77, v150
	v_fma_f16 v77, v98, -0.5, v77
	v_fma_f16 v98, v105, s18, v77
	v_fma_f16 v77, v105, s5, v77
	;; [unrolled: 1-line block ×5, first 2 shown]
	v_add_f16_e32 v97, v156, v84
	v_fma_f16 v82, v105, s19, v82
	v_add_f16_e32 v97, v97, v79
	v_fma_f16 v82, v106, s16, v82
	v_sub_f16_e32 v106, v157, v150
	v_sub_f16_e32 v147, v158, v159
	v_add_f16_e32 v97, v97, v86
	v_add_f16_e32 v106, v106, v147
	v_add_f16_e32 v105, v97, v83
	v_add_f16_e32 v97, v79, v86
	v_fma_f16 v177, v106, s16, v98
	v_fma_f16 v97, v97, -0.5, v156
	v_sub_f16_e32 v98, v150, v159
	v_add_f16_e32 v71, v71, v149
	v_fma_f16 v77, v106, s16, v77
	v_fma_f16 v106, v98, s18, v97
	v_sub_f16_e32 v147, v157, v158
	v_sub_f16_e32 v148, v84, v79
	;; [unrolled: 1-line block ×3, first 2 shown]
	v_fma_f16 v97, v98, s5, v97
	v_add_f16_e32 v148, v148, v149
	v_fma_f16 v97, v147, s4, v97
	v_add_f16_e32 v78, v78, v157
	;; [unrolled: 2-line block ×3, first 2 shown]
	v_fma_f16 v106, v147, s19, v106
	v_fma_f16 v97, v97, -0.5, v156
	v_fma_f16 v106, v148, s16, v106
	v_fma_f16 v148, v147, s5, v97
	v_sub_f16_e32 v79, v79, v84
	v_sub_f16_e32 v83, v86, v83
	v_fma_f16 v84, v147, s18, v97
	v_add_f16_e32 v86, v163, v164
	v_fma_f16 v148, v98, s19, v148
	v_add_f16_e32 v79, v79, v83
	v_fma_f16 v84, v98, s4, v84
	v_fma_f16 v86, v86, -0.5, v20
	v_sub_f16_e32 v98, v85, v161
	v_fma_f16 v83, v79, s16, v148
	v_fma_f16 v97, v98, s5, v86
	v_sub_f16_e32 v147, v67, v87
	v_sub_f16_e32 v148, v160, v163
	;; [unrolled: 1-line block ×3, first 2 shown]
	v_fma_f16 v86, v98, s18, v86
	v_fma_f16 v97, v147, s4, v97
	v_add_f16_e32 v148, v148, v149
	v_fma_f16 v86, v147, s19, v86
	v_fma_f16 v156, v148, s16, v97
	v_fma_f16 v97, v148, s16, v86
	v_add_f16_e32 v86, v160, v165
	v_lshrrev_b32_e32 v162, 16, v20
	v_fma_f16 v79, v79, s16, v84
	v_add_f16_e32 v84, v20, v160
	v_fma_f16 v20, v86, -0.5, v20
	v_fma_f16 v86, v147, s18, v20
	v_fma_f16 v20, v147, s5, v20
	;; [unrolled: 1-line block ×4, first 2 shown]
	v_add_f16_e32 v98, v162, v85
	v_add_f16_e32 v98, v98, v67
	;; [unrolled: 1-line block ×4, first 2 shown]
	v_sub_f16_e32 v148, v163, v160
	v_sub_f16_e32 v149, v164, v165
	v_add_f16_e32 v158, v98, v161
	v_add_f16_e32 v98, v67, v87
	v_add_f16_e32 v148, v148, v149
	v_fma_f16 v98, v98, -0.5, v162
	v_sub_f16_e32 v147, v160, v165
	v_add_f16_e32 v78, v78, v159
	v_fma_f16 v86, v148, s16, v86
	v_fma_f16 v20, v148, s16, v20
	;; [unrolled: 1-line block ×3, first 2 shown]
	v_sub_f16_e32 v149, v163, v164
	v_sub_f16_e32 v150, v85, v67
	;; [unrolled: 1-line block ×3, first 2 shown]
	v_fma_f16 v148, v149, s19, v148
	v_add_f16_e32 v150, v150, v159
	v_fma_f16 v159, v150, s16, v148
	v_fma_f16 v98, v147, s5, v98
	v_add_f16_e32 v148, v85, v161
	v_fma_f16 v98, v149, s4, v98
	v_fma_f16 v148, v148, -0.5, v162
	v_fma_f16 v98, v150, s16, v98
	v_fma_f16 v150, v149, s5, v148
	v_sub_f16_e32 v67, v67, v85
	v_sub_f16_e32 v85, v87, v161
	v_fma_f16 v87, v149, s18, v148
	v_mul_u32_u24_e32 v25, 0x96, v25
	v_fma_f16 v150, v147, s19, v150
	v_fma_f16 v87, v147, s4, v87
	v_add_lshl_u32 v147, v25, v26, 2
	v_pack_b32_f16 v25, v166, v169
	v_pack_b32_f16 v26, v170, v88
	s_barrier
	ds_write2_b32 v147, v25, v26 offset1:30
	v_pack_b32_f16 v25, v172, v38
	v_pack_b32_f16 v21, v36, v21
	ds_write2_b32 v147, v25, v21 offset0:60 offset1:90
	v_pack_b32_f16 v21, v168, v167
	ds_write_b32 v147, v21 offset:480
	v_mul_u32_u24_e32 v21, 0x96, v99
	v_add_lshl_u32 v148, v21, v100, 2
	v_pack_b32_f16 v21, v27, v69
	v_pack_b32_f16 v25, v80, v103
	ds_write2_b32 v148, v21, v25 offset1:30
	v_pack_b32_f16 v21, v171, v70
	v_pack_b32_f16 v25, v37, v39
	s_movk_i32 s4, 0x96
	ds_write2_b32 v148, v21, v25 offset0:60 offset1:90
	v_pack_b32_f16 v21, v68, v89
	ds_write_b32 v148, v21 offset:480
	v_mad_legacy_u16 v21, v101, s4, v102
	v_lshlrev_b32_e32 v149, 2, v21
	v_pack_b32_f16 v21, v71, v90
	v_pack_b32_f16 v25, v173, v104
	ds_write2_b32 v149, v21, v25 offset1:30
	v_pack_b32_f16 v21, v174, v74
	v_pack_b32_f16 v25, v76, v72
	ds_write2_b32 v149, v21, v25 offset0:60 offset1:90
	v_pack_b32_f16 v21, v73, v175
	v_add_f16_e32 v67, v67, v85
	ds_write_b32 v149, v21 offset:480
	v_mad_legacy_u16 v21, v107, s4, v108
	v_fma_f16 v85, v67, s16, v150
	v_lshlrev_b32_e32 v150, 2, v21
	v_pack_b32_f16 v21, v78, v105
	v_pack_b32_f16 v25, v176, v106
	v_add_f16_e32 v84, v84, v163
	ds_write2_b32 v150, v21, v25 offset1:30
	v_pack_b32_f16 v21, v177, v83
	v_pack_b32_f16 v25, v77, v79
	v_add_f16_e32 v84, v84, v164
	ds_write2_b32 v150, v21, v25 offset0:60 offset1:90
	v_pack_b32_f16 v21, v82, v157
	v_add_f16_e32 v84, v84, v165
	ds_write_b32 v150, v21 offset:480
	v_mad_legacy_u16 v21, v151, s4, v154
	v_fma_f16 v67, v67, s16, v87
	v_lshlrev_b32_e32 v151, 2, v21
	v_pack_b32_f16 v21, v84, v158
	v_pack_b32_f16 v25, v156, v159
	ds_write2_b32 v151, v21, v25 offset1:30
	v_pack_b32_f16 v21, v86, v85
	v_pack_b32_f16 v20, v20, v67
	ds_write2_b32 v151, v21, v20 offset0:60 offset1:90
	v_pack_b32_f16 v20, v97, v98
	ds_write_b32 v151, v20 offset:480
	v_add_u32_e32 v20, 0x1600, v109
	s_waitcnt lgkmcnt(0)
	s_barrier
	ds_read2_b32 v[26:27], v109 offset1:90
	ds_read2_b32 v[87:88], v153 offset0:110 offset1:200
	ds_read2_b32 v[89:90], v20 offset0:92 offset1:182
	;; [unrolled: 1-line block ×11, first 2 shown]
	s_and_saveexec_b64 s[4:5], s[2:3]
	s_cbranch_execz .LBB0_13
; %bb.12:
	ds_read_b32 v97, v109 offset:2880
	ds_read_b32 v93, v109 offset:5880
	;; [unrolled: 1-line block ×3, first 2 shown]
	s_waitcnt lgkmcnt(2)
	v_lshrrev_b32_e32 v98, 16, v97
	s_waitcnt lgkmcnt(1)
	v_lshrrev_b32_e32 v96, 16, v93
	s_waitcnt lgkmcnt(0)
	v_lshrrev_b32_e32 v95, 16, v94
.LBB0_13:
	s_or_b64 exec, exec, s[4:5]
	s_movk_i32 s4, 0xffc4
	v_add_co_u32_e32 v69, vcc, s4, v128
	v_addc_co_u32_e64 v70, s[4:5], 0, -1, vcc
	v_cmp_gt_u16_e32 vcc, 60, v128
	v_cndmask_b32_e32 v100, v70, v43, vcc
	v_cndmask_b32_e32 v99, v69, v92, vcc
	v_lshlrev_b64 v[69:70], 3, v[99:100]
	v_mov_b32_e32 v43, s15
	v_add_co_u32_e32 v71, vcc, s14, v69
	v_lshrrev_b16_e32 v69, 1, v28
	v_mul_u32_u24_e32 v69, 0xda75, v69
	v_lshrrev_b32_e32 v154, 22, v69
	v_mul_lo_u16_e32 v69, 0x96, v154
	v_sub_u16_e32 v155, v28, v69
	v_lshlrev_b32_e32 v76, 3, v128
	v_addc_co_u32_e32 v72, vcc, v43, v70, vcc
	v_lshlrev_b16_e32 v69, 3, v155
	global_load_dwordx2 v[67:68], v76, s[14:15] offset:560
	v_add_co_u32_e32 v69, vcc, s14, v69
	v_addc_co_u32_e32 v70, vcc, 0, v43, vcc
	global_load_dwordx2 v[69:70], v[69:70], off offset:560
	s_nop 0
	global_load_dwordx2 v[73:74], v[71:72], off offset:560
	s_nop 0
	global_load_dwordx2 v[71:72], v76, s[14:15] offset:800
	v_lshrrev_b16_e32 v76, 1, v30
	v_mul_u32_u24_e32 v76, 0xda75, v76
	v_lshrrev_b32_e32 v76, 22, v76
	v_lshrrev_b16_e32 v78, 1, v75
	v_mul_lo_u16_e32 v76, 0x96, v76
	v_mul_u32_u24_e32 v78, 0xda75, v78
	v_sub_u16_e32 v156, v30, v76
	v_lshrrev_b32_e32 v78, 22, v78
	v_lshlrev_b16_e32 v76, 3, v156
	v_mul_lo_u16_e32 v78, 0x96, v78
	v_add_co_u32_e32 v76, vcc, s14, v76
	v_sub_u16_e32 v157, v75, v78
	v_addc_co_u32_e32 v77, vcc, 0, v43, vcc
	v_lshlrev_b16_e32 v75, 3, v157
	v_add_co_u32_e32 v79, vcc, s14, v75
	v_addc_co_u32_e32 v80, vcc, 0, v43, vcc
	global_load_dwordx2 v[77:78], v[76:77], off offset:560
	s_nop 0
	global_load_dwordx2 v[75:76], v[79:80], off offset:560
	v_lshrrev_b16_e32 v79, 1, v65
	v_mul_u32_u24_e32 v79, 0xda75, v79
	v_lshrrev_b32_e32 v158, 22, v79
	v_mul_lo_u16_e32 v79, 0x96, v158
	v_sub_u16_e32 v161, v65, v79
	v_lshlrev_b16_e32 v65, 3, v161
	v_add_co_u32_e32 v79, vcc, s14, v65
	v_lshrrev_b16_e32 v65, 1, v81
	v_mul_u32_u24_e32 v65, 0xda75, v65
	v_lshrrev_b32_e32 v65, 22, v65
	v_mul_lo_u16_e32 v65, 0x96, v65
	v_sub_u16_e32 v162, v81, v65
	v_addc_co_u32_e32 v80, vcc, 0, v43, vcc
	v_lshlrev_b16_e32 v65, 3, v162
	v_add_co_u32_e32 v81, vcc, s14, v65
	v_lshrrev_b16_e32 v65, 1, v66
	global_load_dwordx2 v[79:80], v[79:80], off offset:560
	v_mul_u32_u24_e32 v65, 0xda75, v65
	v_lshrrev_b32_e32 v65, 22, v65
	v_mul_lo_u16_e32 v65, 0x96, v65
	v_addc_co_u32_e32 v82, vcc, 0, v43, vcc
	global_load_dwordx2 v[81:82], v[81:82], off offset:560
	v_sub_u16_e32 v163, v66, v65
	v_lshlrev_b16_e32 v65, 3, v163
	v_add_co_u32_e32 v65, vcc, s14, v65
	v_addc_co_u32_e32 v66, vcc, 0, v43, vcc
	global_load_dwordx2 v[65:66], v[65:66], off offset:560
	s_waitcnt lgkmcnt(10)
	v_lshrrev_b32_e32 v102, 16, v87
	s_waitcnt lgkmcnt(9)
	v_lshrrev_b32_e32 v103, 16, v89
	v_lshrrev_b32_e32 v105, 16, v88
	v_lshrrev_b32_e32 v106, 16, v90
	s_waitcnt lgkmcnt(7)
	v_lshrrev_b32_e32 v108, 16, v85
	s_waitcnt lgkmcnt(6)
	v_lshrrev_b32_e32 v152, 16, v83
	v_lshrrev_b32_e32 v100, 16, v86
	v_lshrrev_b32_e32 v153, 16, v84
	;; [unrolled: 6-line block ×4, first 2 shown]
	v_lshrrev_b32_e32 v101, 16, v26
	s_movk_i32 s4, 0x3aee
	s_mov_b32 s5, 0xbaee
	v_lshrrev_b32_e32 v104, 16, v27
	s_waitcnt vmcnt(8)
	v_mul_f16_sdwa v174, v102, v67 dst_sel:DWORD dst_unused:UNUSED_PAD src0_sel:DWORD src1_sel:WORD_1
	v_fma_f16 v174, v87, v67, -v174
	v_mul_f16_sdwa v87, v87, v67 dst_sel:DWORD dst_unused:UNUSED_PAD src0_sel:DWORD src1_sel:WORD_1
	v_fma_f16 v87, v102, v67, v87
	v_mul_f16_sdwa v102, v103, v68 dst_sel:DWORD dst_unused:UNUSED_PAD src0_sel:DWORD src1_sel:WORD_1
	v_fma_f16 v102, v89, v68, -v102
	v_mul_f16_sdwa v89, v89, v68 dst_sel:DWORD dst_unused:UNUSED_PAD src0_sel:DWORD src1_sel:WORD_1
	v_fma_f16 v89, v103, v68, v89
	s_waitcnt vmcnt(6)
	v_mul_f16_sdwa v103, v105, v73 dst_sel:DWORD dst_unused:UNUSED_PAD src0_sel:DWORD src1_sel:WORD_1
	v_fma_f16 v103, v88, v73, -v103
	v_mul_f16_sdwa v88, v88, v73 dst_sel:DWORD dst_unused:UNUSED_PAD src0_sel:DWORD src1_sel:WORD_1
	v_fma_f16 v88, v105, v73, v88
	v_mul_f16_sdwa v105, v106, v74 dst_sel:DWORD dst_unused:UNUSED_PAD src0_sel:DWORD src1_sel:WORD_1
	v_fma_f16 v105, v90, v74, -v105
	v_mul_f16_sdwa v90, v90, v74 dst_sel:DWORD dst_unused:UNUSED_PAD src0_sel:DWORD src1_sel:WORD_1
	v_fma_f16 v90, v106, v74, v90
	;; [unrolled: 9-line block ×3, first 2 shown]
	v_mul_f16_sdwa v152, v100, v69 dst_sel:DWORD dst_unused:UNUSED_PAD src0_sel:DWORD src1_sel:WORD_1
	v_fma_f16 v152, v86, v69, -v152
	v_mul_f16_sdwa v86, v86, v69 dst_sel:DWORD dst_unused:UNUSED_PAD src0_sel:DWORD src1_sel:WORD_1
	v_fma_f16 v86, v100, v69, v86
	v_mul_f16_sdwa v100, v153, v70 dst_sel:DWORD dst_unused:UNUSED_PAD src0_sel:DWORD src1_sel:WORD_1
	v_fma_f16 v100, v84, v70, -v100
	v_mul_f16_sdwa v84, v84, v70 dst_sel:DWORD dst_unused:UNUSED_PAD src0_sel:DWORD src1_sel:WORD_1
	v_fma_f16 v84, v153, v70, v84
	s_waitcnt vmcnt(4)
	v_mul_f16_sdwa v153, v160, v77 dst_sel:DWORD dst_unused:UNUSED_PAD src0_sel:DWORD src1_sel:WORD_1
	v_fma_f16 v153, v38, v77, -v153
	v_mul_f16_sdwa v38, v38, v77 dst_sel:DWORD dst_unused:UNUSED_PAD src0_sel:DWORD src1_sel:WORD_1
	v_fma_f16 v38, v160, v77, v38
	v_mul_f16_sdwa v160, v164, v78 dst_sel:DWORD dst_unused:UNUSED_PAD src0_sel:DWORD src1_sel:WORD_1
	v_fma_f16 v160, v36, v78, -v160
	v_mul_f16_sdwa v36, v36, v78 dst_sel:DWORD dst_unused:UNUSED_PAD src0_sel:DWORD src1_sel:WORD_1
	v_fma_f16 v36, v164, v78, v36
	s_waitcnt vmcnt(3)
	;; [unrolled: 9-line block ×4, first 2 shown]
	v_mul_f16_sdwa v32, v172, v81 dst_sel:DWORD dst_unused:UNUSED_PAD src0_sel:DWORD src1_sel:WORD_1
	v_fma_f16 v176, v35, v81, -v32
	v_mul_f16_sdwa v32, v35, v81 dst_sel:DWORD dst_unused:UNUSED_PAD src0_sel:DWORD src1_sel:WORD_1
	v_fma_f16 v172, v172, v81, v32
	v_mul_f16_sdwa v32, v173, v82 dst_sel:DWORD dst_unused:UNUSED_PAD src0_sel:DWORD src1_sel:WORD_1
	v_fma_f16 v177, v33, v82, -v32
	v_mul_f16_sdwa v32, v33, v82 dst_sel:DWORD dst_unused:UNUSED_PAD src0_sel:DWORD src1_sel:WORD_1
	s_waitcnt vmcnt(0)
	v_mul_f16_sdwa v33, v93, v65 dst_sel:DWORD dst_unused:UNUSED_PAD src0_sel:DWORD src1_sel:WORD_1
	v_fma_f16 v34, v96, v65, v33
	v_mul_f16_sdwa v33, v95, v66 dst_sel:DWORD dst_unused:UNUSED_PAD src0_sel:DWORD src1_sel:WORD_1
	v_fma_f16 v173, v173, v82, v32
	v_mul_f16_sdwa v32, v96, v65 dst_sel:DWORD dst_unused:UNUSED_PAD src0_sel:DWORD src1_sel:WORD_1
	v_fma_f16 v33, v94, v66, -v33
	v_mul_f16_sdwa v35, v94, v66 dst_sel:DWORD dst_unused:UNUSED_PAD src0_sel:DWORD src1_sel:WORD_1
	v_add_f16_e32 v94, v174, v102
	v_fma_f16 v32, v93, v65, -v32
	v_add_f16_e32 v93, v26, v174
	v_fma_f16 v26, v94, -0.5, v26
	v_sub_f16_e32 v94, v87, v89
	v_fma_f16 v35, v95, v66, v35
	v_fma_f16 v95, v94, s4, v26
	;; [unrolled: 1-line block ×3, first 2 shown]
	v_add_f16_e32 v94, v101, v87
	v_add_f16_e32 v87, v87, v89
	v_add_f16_e32 v94, v94, v89
	v_fma_f16 v87, v87, -0.5, v101
	v_sub_f16_e32 v89, v174, v102
	v_add_f16_e32 v101, v103, v105
	v_fma_f16 v96, v89, s5, v87
	v_fma_f16 v87, v89, s4, v87
	v_add_f16_e32 v89, v27, v103
	v_fma_f16 v27, v101, -0.5, v27
	v_sub_f16_e32 v101, v88, v90
	v_add_f16_e32 v93, v93, v102
	v_fma_f16 v102, v101, s4, v27
	v_fma_f16 v27, v101, s5, v27
	v_add_f16_e32 v101, v104, v88
	v_add_f16_e32 v88, v88, v90
	;; [unrolled: 1-line block ×3, first 2 shown]
	v_fma_f16 v88, v88, -0.5, v104
	v_sub_f16_e32 v90, v103, v105
	v_add_f16_e32 v104, v106, v108
	v_lshrrev_b32_e32 v107, 16, v24
	v_fma_f16 v103, v90, s5, v88
	v_fma_f16 v88, v90, s4, v88
	v_add_f16_e32 v90, v24, v106
	v_fma_f16 v24, v104, -0.5, v24
	v_sub_f16_e32 v104, v85, v83
	v_add_f16_e32 v89, v89, v105
	v_fma_f16 v105, v104, s4, v24
	v_fma_f16 v24, v104, s5, v24
	v_add_f16_e32 v104, v107, v85
	v_add_f16_e32 v104, v104, v83
	;; [unrolled: 1-line block ×3, first 2 shown]
	v_fma_f16 v83, v83, -0.5, v107
	v_sub_f16_e32 v85, v106, v108
	v_add_f16_e32 v107, v152, v100
	v_lshrrev_b32_e32 v43, 16, v25
	v_fma_f16 v106, v85, s5, v83
	v_fma_f16 v83, v85, s4, v83
	v_add_f16_e32 v85, v25, v152
	v_fma_f16 v25, v107, -0.5, v25
	v_sub_f16_e32 v107, v86, v84
	v_add_f16_e32 v90, v90, v108
	v_fma_f16 v108, v107, s4, v25
	v_fma_f16 v25, v107, s5, v25
	v_add_f16_e32 v107, v43, v86
	v_add_f16_e32 v107, v107, v84
	;; [unrolled: 1-line block ×3, first 2 shown]
	v_fma_f16 v43, v84, -0.5, v43
	v_sub_f16_e32 v84, v152, v100
	v_fma_f16 v86, v84, s5, v43
	v_fma_f16 v152, v84, s4, v43
	v_add_f16_e32 v43, v22, v153
	v_add_f16_e32 v174, v43, v160
	;; [unrolled: 1-line block ×3, first 2 shown]
	v_lshrrev_b32_e32 v159, 16, v22
	v_fma_f16 v22, v43, -0.5, v22
	v_sub_f16_e32 v43, v38, v36
	v_fma_f16 v178, v43, s4, v22
	v_fma_f16 v22, v43, s5, v22
	v_add_f16_e32 v43, v159, v38
	v_add_f16_e32 v179, v43, v36
	;; [unrolled: 1-line block ×3, first 2 shown]
	v_fma_f16 v36, v36, -0.5, v159
	v_sub_f16_e32 v38, v153, v160
	v_add_f16_e32 v43, v164, v166
	v_lshrrev_b32_e32 v165, 16, v23
	v_fma_f16 v180, v38, s5, v36
	v_fma_f16 v36, v38, s4, v36
	v_add_f16_e32 v38, v23, v164
	v_fma_f16 v23, v43, -0.5, v23
	v_sub_f16_e32 v43, v39, v37
	v_fma_f16 v181, v43, s4, v23
	v_fma_f16 v23, v43, s5, v23
	v_add_f16_e32 v43, v165, v39
	v_add_f16_e32 v182, v43, v37
	;; [unrolled: 1-line block ×3, first 2 shown]
	v_fma_f16 v37, v37, -0.5, v165
	v_sub_f16_e32 v39, v164, v166
	v_add_f16_e32 v43, v167, v175
	v_lshrrev_b32_e32 v168, 16, v20
	v_fma_f16 v164, v39, s5, v37
	v_fma_f16 v37, v39, s4, v37
	v_add_f16_e32 v39, v20, v167
	v_fma_f16 v20, v43, -0.5, v20
	v_sub_f16_e32 v43, v169, v170
	v_fma_f16 v165, v43, s4, v20
	v_fma_f16 v20, v43, s5, v20
	v_add_f16_e32 v43, v168, v169
	v_add_f16_e32 v38, v38, v166
	;; [unrolled: 1-line block ×4, first 2 shown]
	v_fma_f16 v43, v43, -0.5, v168
	v_sub_f16_e32 v84, v167, v175
	v_fma_f16 v167, v84, s5, v43
	v_fma_f16 v168, v84, s4, v43
	v_add_f16_e32 v43, v21, v176
	v_add_f16_e32 v169, v43, v177
	;; [unrolled: 1-line block ×3, first 2 shown]
	v_lshrrev_b32_e32 v171, 16, v21
	v_fma_f16 v21, v43, -0.5, v21
	v_sub_f16_e32 v43, v172, v173
	v_fma_f16 v170, v43, s4, v21
	v_fma_f16 v21, v43, s5, v21
	v_add_f16_e32 v43, v171, v172
	v_add_f16_e32 v39, v39, v175
	;; [unrolled: 1-line block ×4, first 2 shown]
	v_fma_f16 v43, v43, -0.5, v171
	v_sub_f16_e32 v84, v176, v177
	v_fma_f16 v171, v84, s5, v43
	v_fma_f16 v172, v84, s4, v43
	v_add_f16_e32 v43, v32, v33
	v_add_f16_e32 v85, v85, v100
	v_fma_f16 v43, v43, -0.5, v97
	v_sub_f16_e32 v100, v34, v35
	v_pack_b32_f16 v26, v26, v87
	v_fma_f16 v84, v100, s4, v43
	v_fma_f16 v43, v100, s5, v43
	v_add_f16_e32 v100, v34, v35
	s_barrier
	ds_write_b32 v109, v26 offset:1200
	v_mov_b32_e32 v26, 0x1c2
	v_cmp_lt_u16_e32 vcc, 59, v128
	v_fma_f16 v100, v100, -0.5, v98
	v_sub_f16_e32 v153, v32, v33
	v_cndmask_b32_e32 v26, 0, v26, vcc
	v_fma_f16 v159, v153, s5, v100
	v_fma_f16 v160, v153, s4, v100
	v_pack_b32_f16 v93, v93, v94
	v_pack_b32_f16 v94, v95, v96
	v_add_lshl_u32 v153, v99, v26, 2
	v_pack_b32_f16 v26, v89, v101
	v_pack_b32_f16 v87, v102, v103
	ds_write2_b32 v109, v93, v94 offset1:150
	s_movk_i32 s4, 0x1c2
	ds_write2_b32 v153, v26, v87 offset1:150
	v_pack_b32_f16 v26, v27, v88
	v_pack_b32_f16 v24, v24, v83
	ds_write_b32 v153, v26 offset:1200
	v_pack_b32_f16 v26, v90, v104
	v_pack_b32_f16 v27, v105, v106
	v_add_u32_e32 v100, 0x600, v109
	ds_write_b32 v109, v24 offset:3120
	v_mad_legacy_u16 v24, v154, s4, v155
	ds_write2_b32 v100, v26, v27 offset0:96 offset1:246
	v_lshlrev_b32_e32 v154, 2, v24
	v_pack_b32_f16 v24, v85, v107
	v_pack_b32_f16 v26, v108, v86
	ds_write2_b32 v154, v24, v26 offset1:150
	v_pack_b32_f16 v24, v25, v152
	v_lshlrev_b32_e32 v155, 2, v156
	ds_write_b32 v154, v24 offset:1200
	v_pack_b32_f16 v24, v174, v179
	v_pack_b32_f16 v25, v178, v180
	v_add_u32_e32 v26, 0xe00, v155
	v_pack_b32_f16 v22, v22, v36
	v_lshlrev_b32_e32 v156, 2, v157
	ds_write2_b32 v26, v24, v25 offset0:4 offset1:154
	ds_write_b32 v155, v22 offset:4800
	v_pack_b32_f16 v22, v38, v182
	v_pack_b32_f16 v24, v181, v164
	v_add_u32_e32 v25, 0x1400, v156
	ds_write2_b32 v25, v22, v24 offset0:70 offset1:220
	v_pack_b32_f16 v22, v23, v37
	ds_write_b32 v156, v22 offset:6600
	v_mad_legacy_u16 v22, v158, s4, v161
	v_lshlrev_b32_e32 v157, 2, v22
	v_pack_b32_f16 v22, v39, v166
	v_pack_b32_f16 v23, v165, v167
	;; [unrolled: 1-line block ×3, first 2 shown]
	v_lshlrev_b32_e32 v158, 2, v162
	ds_write2_b32 v157, v22, v23 offset1:150
	ds_write_b32 v157, v20 offset:1200
	v_pack_b32_f16 v20, v169, v175
	v_pack_b32_f16 v22, v170, v171
	v_add_u32_e32 v23, 0x1c00, v158
	ds_write2_b32 v23, v20, v22 offset0:8 offset1:158
	v_pack_b32_f16 v20, v21, v172
	v_lshlrev_b32_e32 v152, 2, v163
	ds_write_b32 v158, v20 offset:8400
	s_and_saveexec_b64 s[4:5], s[2:3]
	s_cbranch_execz .LBB0_15
; %bb.14:
	v_add_f16_e32 v20, v98, v34
	v_add_f16_e32 v21, v97, v32
	v_add_f16_e32 v20, v20, v35
	v_add_f16_e32 v21, v21, v33
	s_mov_b32 s16, 0x5040100
	v_pack_b32_f16 v20, v21, v20
	v_perm_b32 v21, v159, v84, s16
	v_add_u32_e32 v22, 0x1c00, v152
	ds_write2_b32 v22, v20, v21 offset0:8 offset1:158
	v_perm_b32 v20, v160, v43, s16
	ds_write_b32 v152, v20 offset:8400
.LBB0_15:
	s_or_b64 exec, exec, s[4:5]
	v_lshlrev_b32_e32 v20, 4, v128
	s_waitcnt lgkmcnt(0)
	s_barrier
	global_load_dwordx4 v[20:23], v20, s[14:15] offset:1760
	v_lshlrev_b32_e32 v24, 4, v92
	global_load_dwordx4 v[24:27], v24, s[14:15] offset:1760
	v_lshlrev_b32_e32 v33, 4, v91
	global_load_dwordx4 v[36:39], v33, s[14:15] offset:1760
	v_mov_b32_e32 v32, s17
	v_lshlrev_b64 v[28:29], 4, v[28:29]
	v_addc_co_u32_e64 v91, vcc, 0, v32, s[6:7]
	v_mov_b32_e32 v174, s15
	v_add_co_u32_e32 v28, vcc, s14, v28
	v_add_u32_e32 v102, 0x400, v109
	v_addc_co_u32_e32 v29, vcc, v174, v29, vcc
	ds_read2_b32 v[85:86], v109 offset1:90
	v_add_u32_e32 v93, 0xc00, v109
	v_add_u32_e32 v101, 0x1200, v109
	v_add_u32_e32 v97, 0x1c00, v109
	v_add_u32_e32 v96, 0x800, v109
	v_add_u32_e32 v94, 0x1400, v109
	v_add_u32_e32 v98, 0x200, v109
	v_add_u32_e32 v92, 0x1000, v109
	v_add_u32_e32 v99, 0x1e00, v109
	v_add_u32_e32 v173, 0xa00, v109
	ds_read_b32 v83, v109 offset:8640
	ds_read2_b32 v[87:88], v102 offset0:104 offset1:194
	ds_read2_b32 v[89:90], v93 offset0:132 offset1:222
	;; [unrolled: 1-line block ×10, first 2 shown]
	global_load_dwordx4 v[32:35], v[28:29], off offset:1760
	v_lshlrev_b64 v[30:31], 4, v[30:31]
	s_waitcnt lgkmcnt(9)
	v_lshrrev_b32_e32 v177, 16, v88
	v_add_co_u32_e32 v28, vcc, s14, v30
	v_addc_co_u32_e32 v29, vcc, v174, v31, vcc
	global_load_dwordx4 v[28:31], v[28:29], off offset:1760
	s_waitcnt lgkmcnt(7)
	v_lshrrev_b32_e32 v179, 16, v104
	s_waitcnt lgkmcnt(6)
	v_lshrrev_b32_e32 v180, 16, v105
	;; [unrolled: 2-line block ×3, first 2 shown]
	v_lshrrev_b32_e32 v182, 16, v90
	s_waitcnt lgkmcnt(4)
	v_lshrrev_b32_e32 v183, 16, v161
	v_lshrrev_b32_e32 v184, 16, v106
	v_lshrrev_b32_e32 v186, 16, v108
	s_waitcnt lgkmcnt(2)
	v_lshrrev_b32_e32 v187, 16, v165
	v_lshrrev_b32_e32 v188, 16, v162
	v_add_u32_e32 v95, 0x1800, v109
	s_waitcnt lgkmcnt(1)
	v_lshrrev_b32_e32 v189, 16, v167
	ds_read2_b32 v[171:172], v95 offset0:84 offset1:174
	s_waitcnt lgkmcnt(1)
	v_lshrrev_b32_e32 v191, 16, v169
	v_lshrrev_b32_e32 v192, 16, v166
	;; [unrolled: 1-line block ×4, first 2 shown]
	s_waitcnt lgkmcnt(0)
	v_lshrrev_b32_e32 v193, 16, v171
	v_lshrrev_b32_e32 v197, 16, v103
	v_lshrrev_b32_e32 v198, 16, v172
	v_lshrrev_b32_e32 v176, 16, v83
	v_lshrrev_b32_e32 v178, 16, v89
	s_movk_i32 s5, 0x3b9c
	s_mov_b32 s7, 0xbb9c
	s_movk_i32 s4, 0x38b4
	s_mov_b32 s14, 0xb8b4
	s_movk_i32 s6, 0x34f2
	v_lshrrev_b32_e32 v174, 16, v85
	v_lshrrev_b32_e32 v175, 16, v86
	;; [unrolled: 1-line block ×5, first 2 shown]
	s_waitcnt vmcnt(4)
	v_mul_f16_sdwa v199, v177, v20 dst_sel:DWORD dst_unused:UNUSED_PAD src0_sel:DWORD src1_sel:WORD_1
	v_mul_f16_sdwa v203, v179, v22 dst_sel:DWORD dst_unused:UNUSED_PAD src0_sel:DWORD src1_sel:WORD_1
	;; [unrolled: 1-line block ×3, first 2 shown]
	v_fma_f16 v88, v88, v20, -v199
	v_fma_f16 v199, v104, v22, -v203
	v_mul_f16_sdwa v104, v104, v22 dst_sel:DWORD dst_unused:UNUSED_PAD src0_sel:DWORD src1_sel:WORD_1
	v_fma_f16 v104, v179, v22, v104
	v_mul_f16_sdwa v179, v180, v23 dst_sel:DWORD dst_unused:UNUSED_PAD src0_sel:DWORD src1_sel:WORD_1
	v_fma_f16 v179, v105, v23, -v179
	v_mul_f16_sdwa v105, v105, v23 dst_sel:DWORD dst_unused:UNUSED_PAD src0_sel:DWORD src1_sel:WORD_1
	v_fma_f16 v105, v180, v23, v105
	s_waitcnt vmcnt(3)
	v_mul_f16_sdwa v180, v181, v24 dst_sel:DWORD dst_unused:UNUSED_PAD src0_sel:DWORD src1_sel:WORD_1
	v_fma_f16 v180, v107, v24, -v180
	v_mul_f16_sdwa v107, v107, v24 dst_sel:DWORD dst_unused:UNUSED_PAD src0_sel:DWORD src1_sel:WORD_1
	v_fma_f16 v107, v181, v24, v107
	v_mul_f16_sdwa v181, v182, v25 dst_sel:DWORD dst_unused:UNUSED_PAD src0_sel:DWORD src1_sel:WORD_1
	v_fma_f16 v181, v90, v25, -v181
	v_mul_f16_sdwa v90, v90, v25 dst_sel:DWORD dst_unused:UNUSED_PAD src0_sel:DWORD src1_sel:WORD_1
	v_fma_f16 v90, v182, v25, v90
	v_mul_f16_sdwa v182, v183, v26 dst_sel:DWORD dst_unused:UNUSED_PAD src0_sel:DWORD src1_sel:WORD_1
	v_fma_f16 v182, v161, v26, -v182
	v_mul_f16_sdwa v161, v161, v26 dst_sel:DWORD dst_unused:UNUSED_PAD src0_sel:DWORD src1_sel:WORD_1
	v_fma_f16 v161, v183, v26, v161
	v_mul_f16_sdwa v183, v184, v27 dst_sel:DWORD dst_unused:UNUSED_PAD src0_sel:DWORD src1_sel:WORD_1
	v_fma_f16 v183, v106, v27, -v183
	v_mul_f16_sdwa v106, v106, v27 dst_sel:DWORD dst_unused:UNUSED_PAD src0_sel:DWORD src1_sel:WORD_1
	v_fma_f16 v106, v184, v27, v106
	s_waitcnt vmcnt(2)
	v_mul_f16_sdwa v184, v186, v36 dst_sel:DWORD dst_unused:UNUSED_PAD src0_sel:DWORD src1_sel:WORD_1
	v_fma_f16 v184, v108, v36, -v184
	v_mul_f16_sdwa v108, v108, v36 dst_sel:DWORD dst_unused:UNUSED_PAD src0_sel:DWORD src1_sel:WORD_1
	v_fma_f16 v108, v186, v36, v108
	v_mul_f16_sdwa v186, v187, v37 dst_sel:DWORD dst_unused:UNUSED_PAD src0_sel:DWORD src1_sel:WORD_1
	v_fma_f16 v186, v165, v37, -v186
	v_mul_f16_sdwa v165, v165, v37 dst_sel:DWORD dst_unused:UNUSED_PAD src0_sel:DWORD src1_sel:WORD_1
	v_fma_f16 v165, v187, v37, v165
	v_mul_f16_sdwa v187, v188, v38 dst_sel:DWORD dst_unused:UNUSED_PAD src0_sel:DWORD src1_sel:WORD_1
	v_fma_f16 v187, v162, v38, -v187
	v_mul_f16_sdwa v162, v162, v38 dst_sel:DWORD dst_unused:UNUSED_PAD src0_sel:DWORD src1_sel:WORD_1
	v_fma_f16 v162, v188, v38, v162
	v_mul_f16_sdwa v188, v189, v39 dst_sel:DWORD dst_unused:UNUSED_PAD src0_sel:DWORD src1_sel:WORD_1
	v_fma_f16 v188, v167, v39, -v188
	v_mul_f16_sdwa v167, v167, v39 dst_sel:DWORD dst_unused:UNUSED_PAD src0_sel:DWORD src1_sel:WORD_1
	v_fma_f16 v167, v189, v39, v167
	s_waitcnt vmcnt(1)
	v_mul_f16_sdwa v189, v191, v32 dst_sel:DWORD dst_unused:UNUSED_PAD src0_sel:DWORD src1_sel:WORD_1
	v_fma_f16 v189, v169, v32, -v189
	v_mul_f16_sdwa v169, v169, v32 dst_sel:DWORD dst_unused:UNUSED_PAD src0_sel:DWORD src1_sel:WORD_1
	v_fma_f16 v169, v191, v32, v169
	v_mul_f16_sdwa v191, v192, v33 dst_sel:DWORD dst_unused:UNUSED_PAD src0_sel:DWORD src1_sel:WORD_1
	v_fma_f16 v191, v166, v33, -v191
	v_mul_f16_sdwa v166, v166, v33 dst_sel:DWORD dst_unused:UNUSED_PAD src0_sel:DWORD src1_sel:WORD_1
	v_fma_f16 v166, v192, v33, v166
	v_mul_f16_sdwa v192, v193, v34 dst_sel:DWORD dst_unused:UNUSED_PAD src0_sel:DWORD src1_sel:WORD_1
	v_fma_f16 v192, v171, v34, -v192
	v_mul_f16_sdwa v171, v171, v34 dst_sel:DWORD dst_unused:UNUSED_PAD src0_sel:DWORD src1_sel:WORD_1
	v_fma_f16 v171, v193, v34, v171
	v_mul_f16_sdwa v193, v194, v35 dst_sel:DWORD dst_unused:UNUSED_PAD src0_sel:DWORD src1_sel:WORD_1
	v_fma_f16 v193, v168, v35, -v193
	v_mul_f16_sdwa v168, v168, v35 dst_sel:DWORD dst_unused:UNUSED_PAD src0_sel:DWORD src1_sel:WORD_1
	v_fma_f16 v168, v194, v35, v168
	s_waitcnt vmcnt(0)
	v_mul_f16_sdwa v194, v196, v28 dst_sel:DWORD dst_unused:UNUSED_PAD src0_sel:DWORD src1_sel:WORD_1
	v_fma_f16 v194, v170, v28, -v194
	v_mul_f16_sdwa v170, v170, v28 dst_sel:DWORD dst_unused:UNUSED_PAD src0_sel:DWORD src1_sel:WORD_1
	v_fma_f16 v170, v196, v28, v170
	v_mul_f16_sdwa v196, v197, v29 dst_sel:DWORD dst_unused:UNUSED_PAD src0_sel:DWORD src1_sel:WORD_1
	v_fma_f16 v196, v103, v29, -v196
	v_mul_f16_sdwa v103, v103, v29 dst_sel:DWORD dst_unused:UNUSED_PAD src0_sel:DWORD src1_sel:WORD_1
	v_fma_f16 v103, v197, v29, v103
	v_mul_f16_sdwa v197, v198, v30 dst_sel:DWORD dst_unused:UNUSED_PAD src0_sel:DWORD src1_sel:WORD_1
	v_fma_f16 v197, v172, v30, -v197
	v_mul_f16_sdwa v172, v172, v30 dst_sel:DWORD dst_unused:UNUSED_PAD src0_sel:DWORD src1_sel:WORD_1
	v_fma_f16 v172, v198, v30, v172
	v_mul_f16_sdwa v198, v176, v31 dst_sel:DWORD dst_unused:UNUSED_PAD src0_sel:DWORD src1_sel:WORD_1
	v_mul_f16_sdwa v201, v178, v21 dst_sel:DWORD dst_unused:UNUSED_PAD src0_sel:DWORD src1_sel:WORD_1
	v_fma_f16 v198, v83, v31, -v198
	v_mul_f16_sdwa v83, v83, v31 dst_sel:DWORD dst_unused:UNUSED_PAD src0_sel:DWORD src1_sel:WORD_1
	v_mul_f16_sdwa v202, v89, v21 dst_sel:DWORD dst_unused:UNUSED_PAD src0_sel:DWORD src1_sel:WORD_1
	v_fma_f16 v89, v89, v21, -v201
	v_fma_f16 v176, v176, v31, v83
	v_add_f16_e32 v83, v85, v88
	v_add_f16_e32 v83, v83, v89
	;; [unrolled: 1-line block ×3, first 2 shown]
	v_fma_f16 v177, v177, v20, v200
	v_add_f16_e32 v200, v83, v179
	v_add_f16_e32 v83, v89, v199
	v_fma_f16 v178, v178, v21, v202
	v_fma_f16 v83, v83, -0.5, v85
	v_sub_f16_e32 v201, v177, v105
	v_fma_f16 v202, v201, s5, v83
	v_sub_f16_e32 v203, v178, v104
	v_sub_f16_e32 v204, v88, v89
	;; [unrolled: 1-line block ×3, first 2 shown]
	v_fma_f16 v83, v201, s7, v83
	v_fma_f16 v202, v203, s4, v202
	v_add_f16_e32 v204, v204, v205
	v_fma_f16 v83, v203, s14, v83
	v_fma_f16 v202, v204, s6, v202
	v_fma_f16 v204, v204, s6, v83
	v_add_f16_e32 v83, v88, v179
	v_fma_f16 v83, v83, -0.5, v85
	v_fma_f16 v85, v203, s7, v83
	v_sub_f16_e32 v205, v89, v88
	v_sub_f16_e32 v206, v199, v179
	v_fma_f16 v83, v203, s5, v83
	v_add_f16_e32 v205, v205, v206
	v_fma_f16 v83, v201, s14, v83
	v_fma_f16 v85, v201, s4, v85
	;; [unrolled: 1-line block ×3, first 2 shown]
	v_add_f16_e32 v83, v174, v177
	v_add_f16_e32 v83, v83, v178
	;; [unrolled: 1-line block ×5, first 2 shown]
	v_fma_f16 v206, v205, s6, v85
	v_fma_f16 v83, v83, -0.5, v174
	v_sub_f16_e32 v85, v88, v179
	v_fma_f16 v88, v85, s7, v83
	v_sub_f16_e32 v89, v89, v199
	v_sub_f16_e32 v179, v177, v178
	;; [unrolled: 1-line block ×3, first 2 shown]
	v_fma_f16 v83, v85, s5, v83
	v_fma_f16 v88, v89, s14, v88
	v_add_f16_e32 v179, v179, v199
	v_fma_f16 v83, v89, s4, v83
	v_fma_f16 v199, v179, s6, v88
	v_fma_f16 v179, v179, s6, v83
	v_add_f16_e32 v83, v177, v105
	v_fma_f16 v83, v83, -0.5, v174
	v_fma_f16 v88, v89, s5, v83
	v_sub_f16_e32 v174, v178, v177
	v_sub_f16_e32 v104, v104, v105
	v_fma_f16 v83, v89, s7, v83
	v_add_f16_e32 v104, v174, v104
	v_fma_f16 v83, v85, s4, v83
	v_fma_f16 v89, v104, s6, v83
	v_add_f16_e32 v83, v86, v180
	v_add_f16_e32 v83, v83, v181
	v_fma_f16 v88, v85, s14, v88
	v_add_f16_e32 v83, v83, v182
	v_fma_f16 v105, v104, s6, v88
	v_add_f16_e32 v104, v83, v183
	v_add_f16_e32 v83, v181, v182
	v_fma_f16 v83, v83, -0.5, v86
	v_sub_f16_e32 v85, v107, v106
	v_fma_f16 v88, v85, s5, v83
	v_sub_f16_e32 v174, v90, v161
	v_sub_f16_e32 v177, v180, v181
	;; [unrolled: 1-line block ×3, first 2 shown]
	v_fma_f16 v83, v85, s7, v83
	v_fma_f16 v88, v174, s4, v88
	v_add_f16_e32 v177, v177, v178
	v_fma_f16 v83, v174, s14, v83
	v_fma_f16 v178, v177, s6, v88
	v_fma_f16 v177, v177, s6, v83
	v_add_f16_e32 v83, v180, v183
	v_fma_f16 v83, v83, -0.5, v86
	v_fma_f16 v86, v174, s7, v83
	v_sub_f16_e32 v88, v181, v180
	v_sub_f16_e32 v205, v182, v183
	v_fma_f16 v83, v174, s5, v83
	v_add_f16_e32 v88, v88, v205
	v_fma_f16 v83, v85, s14, v83
	v_fma_f16 v174, v88, s6, v83
	v_add_f16_e32 v83, v175, v107
	v_add_f16_e32 v83, v83, v90
	;; [unrolled: 1-line block ×5, first 2 shown]
	v_fma_f16 v86, v85, s4, v86
	v_fma_f16 v83, v83, -0.5, v175
	v_sub_f16_e32 v85, v180, v183
	v_fma_f16 v205, v88, s6, v86
	v_fma_f16 v86, v85, s7, v83
	v_sub_f16_e32 v88, v181, v182
	v_sub_f16_e32 v180, v107, v90
	;; [unrolled: 1-line block ×3, first 2 shown]
	v_fma_f16 v83, v85, s5, v83
	v_fma_f16 v86, v88, s14, v86
	v_add_f16_e32 v180, v180, v181
	v_fma_f16 v83, v88, s4, v83
	v_fma_f16 v181, v180, s6, v86
	;; [unrolled: 1-line block ×3, first 2 shown]
	v_add_f16_e32 v83, v107, v106
	v_fma_f16 v83, v83, -0.5, v175
	v_fma_f16 v86, v88, s5, v83
	v_sub_f16_e32 v90, v90, v107
	v_sub_f16_e32 v106, v161, v106
	v_fma_f16 v83, v88, s7, v83
	v_fma_f16 v86, v85, s14, v86
	v_add_f16_e32 v90, v90, v106
	v_fma_f16 v83, v85, s4, v83
	v_fma_f16 v106, v90, s6, v86
	;; [unrolled: 1-line block ×3, first 2 shown]
	v_add_f16_e32 v83, v163, v184
	v_add_f16_e32 v83, v83, v186
	;; [unrolled: 1-line block ×5, first 2 shown]
	v_fma_f16 v83, v83, -0.5, v163
	v_sub_f16_e32 v85, v108, v167
	v_fma_f16 v86, v85, s5, v83
	v_sub_f16_e32 v88, v165, v162
	v_sub_f16_e32 v161, v184, v186
	;; [unrolled: 1-line block ×3, first 2 shown]
	v_fma_f16 v83, v85, s7, v83
	v_add_f16_e32 v161, v161, v175
	v_fma_f16 v83, v88, s14, v83
	v_fma_f16 v182, v161, s6, v83
	v_add_f16_e32 v83, v184, v188
	v_fma_f16 v86, v88, s4, v86
	v_fma_f16 v83, v83, -0.5, v163
	v_fma_f16 v175, v161, s6, v86
	v_fma_f16 v86, v88, s7, v83
	v_sub_f16_e32 v161, v186, v184
	v_sub_f16_e32 v163, v187, v188
	v_fma_f16 v83, v88, s5, v83
	v_add_f16_e32 v161, v161, v163
	v_fma_f16 v83, v85, s14, v83
	v_fma_f16 v208, v161, s6, v83
	v_add_f16_e32 v83, v185, v108
	v_add_f16_e32 v83, v83, v165
	;; [unrolled: 1-line block ×5, first 2 shown]
	v_fma_f16 v86, v85, s4, v86
	v_fma_f16 v83, v83, -0.5, v185
	v_sub_f16_e32 v85, v184, v188
	v_fma_f16 v183, v161, s6, v86
	v_fma_f16 v86, v85, s7, v83
	v_sub_f16_e32 v88, v186, v187
	v_sub_f16_e32 v161, v108, v165
	;; [unrolled: 1-line block ×3, first 2 shown]
	v_fma_f16 v83, v85, s5, v83
	v_add_f16_e32 v161, v161, v163
	v_fma_f16 v83, v88, s4, v83
	v_fma_f16 v186, v161, s6, v83
	v_add_f16_e32 v83, v108, v167
	v_fma_f16 v86, v88, s14, v86
	v_fma_f16 v83, v83, -0.5, v185
	v_fma_f16 v184, v161, s6, v86
	v_fma_f16 v86, v88, s5, v83
	v_sub_f16_e32 v108, v165, v108
	v_sub_f16_e32 v161, v162, v167
	v_fma_f16 v83, v88, s7, v83
	v_fma_f16 v86, v85, s14, v86
	v_add_f16_e32 v108, v108, v161
	v_fma_f16 v83, v85, s4, v83
	v_fma_f16 v167, v108, s6, v86
	;; [unrolled: 1-line block ×3, first 2 shown]
	v_add_f16_e32 v83, v164, v189
	v_add_f16_e32 v83, v83, v191
	;; [unrolled: 1-line block ×5, first 2 shown]
	v_fma_f16 v83, v83, -0.5, v164
	v_sub_f16_e32 v85, v169, v168
	v_fma_f16 v86, v85, s5, v83
	v_sub_f16_e32 v88, v166, v171
	v_sub_f16_e32 v161, v189, v191
	;; [unrolled: 1-line block ×3, first 2 shown]
	v_fma_f16 v83, v85, s7, v83
	v_add_f16_e32 v161, v161, v162
	v_fma_f16 v83, v88, s14, v83
	v_fma_f16 v188, v161, s6, v83
	v_add_f16_e32 v83, v189, v193
	v_fma_f16 v86, v88, s4, v86
	v_fma_f16 v83, v83, -0.5, v164
	v_fma_f16 v187, v161, s6, v86
	v_fma_f16 v86, v88, s7, v83
	v_sub_f16_e32 v161, v191, v189
	v_sub_f16_e32 v162, v192, v193
	v_fma_f16 v83, v88, s5, v83
	v_add_f16_e32 v161, v161, v162
	v_fma_f16 v83, v85, s14, v83
	v_fma_f16 v211, v161, s6, v83
	v_add_f16_e32 v83, v190, v169
	v_add_f16_e32 v83, v83, v166
	;; [unrolled: 1-line block ×5, first 2 shown]
	v_fma_f16 v86, v85, s4, v86
	v_fma_f16 v83, v83, -0.5, v190
	v_sub_f16_e32 v85, v189, v193
	v_fma_f16 v210, v161, s6, v86
	v_fma_f16 v86, v85, s7, v83
	v_sub_f16_e32 v88, v191, v192
	v_sub_f16_e32 v161, v169, v166
	;; [unrolled: 1-line block ×3, first 2 shown]
	v_fma_f16 v83, v85, s5, v83
	v_add_f16_e32 v161, v161, v162
	v_fma_f16 v83, v88, s4, v83
	v_fma_f16 v191, v161, s6, v83
	v_add_f16_e32 v83, v169, v168
	v_fma_f16 v86, v88, s14, v86
	v_fma_f16 v83, v83, -0.5, v190
	v_fma_f16 v189, v161, s6, v86
	v_fma_f16 v86, v88, s5, v83
	v_sub_f16_e32 v161, v166, v169
	v_sub_f16_e32 v162, v171, v168
	v_fma_f16 v83, v88, s7, v83
	v_add_f16_e32 v161, v161, v162
	v_fma_f16 v83, v85, s4, v83
	v_fma_f16 v168, v161, s6, v83
	v_add_f16_e32 v83, v87, v194
	v_add_f16_e32 v83, v83, v196
	;; [unrolled: 1-line block ×3, first 2 shown]
	v_fma_f16 v86, v85, s14, v86
	v_add_f16_e32 v85, v83, v198
	v_add_f16_e32 v83, v196, v197
	v_fma_f16 v83, v83, -0.5, v87
	v_sub_f16_e32 v88, v170, v176
	v_fma_f16 v166, v161, s6, v86
	v_fma_f16 v86, v88, s5, v83
	v_sub_f16_e32 v161, v103, v172
	v_sub_f16_e32 v162, v194, v196
	;; [unrolled: 1-line block ×3, first 2 shown]
	v_fma_f16 v83, v88, s7, v83
	v_fma_f16 v86, v161, s4, v86
	v_add_f16_e32 v162, v162, v163
	v_fma_f16 v83, v161, s14, v83
	v_fma_f16 v86, v162, s6, v86
	;; [unrolled: 1-line block ×3, first 2 shown]
	v_add_f16_e32 v162, v194, v198
	v_fma_f16 v162, v162, -0.5, v87
	v_fma_f16 v87, v161, s7, v162
	v_fma_f16 v161, v161, s5, v162
	;; [unrolled: 1-line block ×4, first 2 shown]
	v_add_f16_e32 v161, v195, v170
	v_add_f16_e32 v161, v161, v103
	v_sub_f16_e32 v163, v196, v194
	v_sub_f16_e32 v164, v197, v198
	v_add_f16_e32 v161, v161, v172
	v_add_f16_e32 v163, v163, v164
	v_add_f16_e32 v162, v161, v176
	v_add_f16_e32 v161, v103, v172
	v_fma_f16 v87, v163, s6, v87
	v_fma_f16 v88, v163, s6, v88
	v_fma_f16 v163, v161, -0.5, v195
	v_sub_f16_e32 v169, v194, v198
	v_fma_f16 v161, v169, s7, v163
	v_sub_f16_e32 v171, v196, v197
	v_sub_f16_e32 v164, v170, v103
	;; [unrolled: 1-line block ×3, first 2 shown]
	v_fma_f16 v163, v169, s5, v163
	v_add_f16_e32 v164, v164, v165
	v_fma_f16 v163, v171, s4, v163
	v_fma_f16 v165, v164, s6, v163
	v_add_f16_e32 v163, v170, v176
	v_fma_f16 v161, v171, s14, v161
	v_fma_f16 v163, v163, -0.5, v195
	v_fma_f16 v161, v164, s6, v161
	v_fma_f16 v164, v171, s5, v163
	v_sub_f16_e32 v103, v103, v170
	v_sub_f16_e32 v170, v172, v176
	v_fma_f16 v163, v171, s7, v163
	v_pack_b32_f16 v89, v201, v89
	v_fma_f16 v164, v169, s14, v164
	v_add_f16_e32 v103, v103, v170
	v_fma_f16 v163, v169, s4, v163
	ds_write_b32 v109, v89 offset:5400
	v_pack_b32_f16 v89, v204, v179
	v_fma_f16 v164, v103, s6, v164
	v_fma_f16 v163, v103, s6, v163
	v_pack_b32_f16 v103, v200, v203
	v_pack_b32_f16 v169, v202, v199
	;; [unrolled: 1-line block ×3, first 2 shown]
	ds_write_b32 v109, v89 offset:7200
	v_pack_b32_f16 v89, v104, v207
	v_pack_b32_f16 v90, v174, v90
	ds_write_b32 v109, v169 offset:1800
	ds_write_b32 v109, v105 offset:3600
	ds_write2_b32 v109, v103, v89 offset1:90
	v_pack_b32_f16 v103, v205, v106
	ds_write_b32 v109, v90 offset:5760
	v_pack_b32_f16 v90, v177, v180
	v_pack_b32_f16 v89, v178, v181
	ds_write_b32 v109, v103 offset:3960
	ds_write_b32 v109, v90 offset:7560
	v_pack_b32_f16 v90, v107, v209
	v_pack_b32_f16 v103, v175, v184
	;; [unrolled: 1-line block ×3, first 2 shown]
	ds_write2_b32 v96, v89, v103 offset0:28 offset1:118
	v_pack_b32_f16 v89, v183, v167
	ds_write2_b32 v98, v90, v105 offset0:52 offset1:142
	v_pack_b32_f16 v105, v210, v166
	v_pack_b32_f16 v103, v208, v108
	ds_write2_b32 v92, v89, v105 offset0:56 offset1:146
	v_pack_b32_f16 v89, v211, v168
	v_add_u32_e32 v180, 0x1600, v109
	v_pack_b32_f16 v104, v182, v186
	ds_write2_b32 v180, v103, v89 offset0:122 offset1:212
	v_pack_b32_f16 v89, v188, v191
	ds_write2_b32 v99, v104, v89 offset0:60 offset1:150
	v_pack_b32_f16 v89, v85, v162
	v_pack_b32_f16 v90, v187, v189
	ds_write_b32 v109, v89 offset:1440
	v_pack_b32_f16 v89, v86, v161
	ds_write2_b32 v173, v90, v89 offset0:80 offset1:170
	v_pack_b32_f16 v89, v87, v164
	ds_write_b32 v109, v89 offset:5040
	v_pack_b32_f16 v89, v88, v163
	ds_write_b32 v109, v89 offset:6840
	v_pack_b32_f16 v89, v83, v165
	s_movk_i32 s4, 0x2000
	ds_write_b32 v109, v89 offset:8640
	v_add_co_u32_e32 v89, vcc, s4, v40
	v_addc_co_u32_e32 v90, vcc, 0, v91, vcc
	s_waitcnt lgkmcnt(0)
	s_barrier
	global_load_dword v166, v[89:90], off offset:808
	s_movk_i32 s4, 0x2328
	v_add_co_u32_e32 v89, vcc, s4, v40
	v_addc_co_u32_e32 v90, vcc, 0, v91, vcc
	global_load_dword v168, v[89:90], off offset:900
	global_load_dword v170, v[89:90], off offset:1800
	;; [unrolled: 1-line block ×4, first 2 shown]
	s_movk_i32 s4, 0x3000
	v_add_co_u32_e32 v103, vcc, s4, v40
	v_addc_co_u32_e32 v104, vcc, 0, v91, vcc
	global_load_dword v176, v[103:104], off offset:1212
	global_load_dword v178, v[103:104], off offset:2112
	;; [unrolled: 1-line block ×4, first 2 shown]
	s_movk_i32 s4, 0x4000
	v_add_co_u32_e32 v107, vcc, s4, v40
	ds_read2_b32 v[105:106], v109 offset1:90
	v_addc_co_u32_e32 v108, vcc, 0, v91, vcc
	global_load_dword v91, v[107:108], off offset:716
	global_load_dword v182, v[89:90], off offset:3060
	global_load_dword v183, v[89:90], off offset:2160
	global_load_dword v184, v[89:90], off offset:1260
	global_load_dword v185, v[89:90], off offset:360
	global_load_dword v186, v[103:104], off offset:3372
	global_load_dword v187, v[103:104], off offset:2472
	global_load_dword v188, v[103:104], off offset:1572
	global_load_dword v189, v[89:90], off offset:3960
	s_waitcnt lgkmcnt(0)
	v_lshrrev_b32_e32 v167, 16, v105
	s_movk_i32 s6, 0x1000
	s_waitcnt vmcnt(17)
	v_mul_f16_sdwa v103, v167, v166 dst_sel:DWORD dst_unused:UNUSED_PAD src0_sel:DWORD src1_sel:WORD_1
	v_mul_f16_sdwa v104, v105, v166 dst_sel:DWORD dst_unused:UNUSED_PAD src0_sel:DWORD src1_sel:WORD_1
	v_fma_f16 v103, v105, v166, -v103
	v_fma_f16 v104, v167, v166, v104
	v_pack_b32_f16 v103, v103, v104
	ds_write_b32 v109, v103
	ds_read2_b32 v[103:104], v98 offset0:97 offset1:187
	ds_read2_b32 v[166:167], v100 offset0:66 offset1:156
	s_waitcnt lgkmcnt(1)
	v_lshrrev_b32_e32 v105, 16, v103
	s_waitcnt vmcnt(16)
	v_mul_f16_sdwa v169, v105, v168 dst_sel:DWORD dst_unused:UNUSED_PAD src0_sel:DWORD src1_sel:WORD_1
	v_fma_f16 v100, v103, v168, -v169
	v_mul_f16_sdwa v103, v103, v168 dst_sel:DWORD dst_unused:UNUSED_PAD src0_sel:DWORD src1_sel:WORD_1
	v_fma_f16 v103, v105, v168, v103
	ds_read2_b32 v[168:169], v96 offset0:163 offset1:253
	v_pack_b32_f16 v100, v100, v103
	s_waitcnt lgkmcnt(1)
	v_lshrrev_b32_e32 v103, 16, v166
	s_waitcnt vmcnt(15)
	v_mul_f16_sdwa v105, v103, v170 dst_sel:DWORD dst_unused:UNUSED_PAD src0_sel:DWORD src1_sel:WORD_1
	v_fma_f16 v105, v166, v170, -v105
	v_mul_f16_sdwa v166, v166, v170 dst_sel:DWORD dst_unused:UNUSED_PAD src0_sel:DWORD src1_sel:WORD_1
	v_fma_f16 v103, v103, v170, v166
	ds_read2_b32 v[170:171], v93 offset0:132 offset1:222
	v_pack_b32_f16 v103, v105, v103
	s_waitcnt lgkmcnt(1)
	v_lshrrev_b32_e32 v105, 16, v168
	s_waitcnt vmcnt(14)
	v_mul_f16_sdwa v166, v105, v172 dst_sel:DWORD dst_unused:UNUSED_PAD src0_sel:DWORD src1_sel:WORD_1
	v_fma_f16 v166, v168, v172, -v166
	v_mul_f16_sdwa v168, v168, v172 dst_sel:DWORD dst_unused:UNUSED_PAD src0_sel:DWORD src1_sel:WORD_1
	v_fma_f16 v105, v105, v172, v168
	ds_read2_b32 v[172:173], v92 offset0:101 offset1:191
	v_pack_b32_f16 v105, v166, v105
	s_waitcnt lgkmcnt(1)
	v_lshrrev_b32_e32 v166, 16, v170
	s_waitcnt vmcnt(13)
	v_mul_f16_sdwa v168, v166, v174 dst_sel:DWORD dst_unused:UNUSED_PAD src0_sel:DWORD src1_sel:WORD_1
	v_fma_f16 v168, v170, v174, -v168
	v_mul_f16_sdwa v170, v170, v174 dst_sel:DWORD dst_unused:UNUSED_PAD src0_sel:DWORD src1_sel:WORD_1
	v_fma_f16 v166, v166, v174, v170
	ds_read2_b32 v[174:175], v94 offset0:70 offset1:160
	v_pack_b32_f16 v166, v168, v166
	s_waitcnt lgkmcnt(1)
	v_lshrrev_b32_e32 v168, 16, v172
	s_waitcnt vmcnt(12)
	v_mul_f16_sdwa v170, v168, v176 dst_sel:DWORD dst_unused:UNUSED_PAD src0_sel:DWORD src1_sel:WORD_1
	v_fma_f16 v170, v172, v176, -v170
	v_mul_f16_sdwa v172, v172, v176 dst_sel:DWORD dst_unused:UNUSED_PAD src0_sel:DWORD src1_sel:WORD_1
	v_fma_f16 v168, v168, v176, v172
	v_pack_b32_f16 v168, v170, v168
	s_waitcnt lgkmcnt(0)
	v_lshrrev_b32_e32 v170, 16, v174
	s_waitcnt vmcnt(11)
	v_mul_f16_sdwa v172, v170, v178 dst_sel:DWORD dst_unused:UNUSED_PAD src0_sel:DWORD src1_sel:WORD_1
	v_fma_f16 v172, v174, v178, -v172
	v_mul_f16_sdwa v174, v174, v178 dst_sel:DWORD dst_unused:UNUSED_PAD src0_sel:DWORD src1_sel:WORD_1
	ds_read2_b32 v[176:177], v95 offset0:39 offset1:129
	v_fma_f16 v170, v170, v178, v174
	global_load_dword v174, v[107:108], off offset:1076
	global_load_dword v190, v[107:108], off offset:176
	v_pack_b32_f16 v170, v172, v170
	ds_read2_b32 v[107:108], v97 offset0:8 offset1:98
	s_waitcnt lgkmcnt(1)
	v_lshrrev_b32_e32 v172, 16, v176
	s_waitcnt vmcnt(12)
	v_mul_f16_sdwa v178, v172, v179 dst_sel:DWORD dst_unused:UNUSED_PAD src0_sel:DWORD src1_sel:WORD_1
	v_fma_f16 v178, v176, v179, -v178
	v_mul_f16_sdwa v176, v176, v179 dst_sel:DWORD dst_unused:UNUSED_PAD src0_sel:DWORD src1_sel:WORD_1
	v_fma_f16 v172, v172, v179, v176
	v_pack_b32_f16 v172, v178, v172
	ds_read2_b32 v[178:179], v99 offset0:105 offset1:195
	s_waitcnt lgkmcnt(1)
	v_lshrrev_b32_e32 v176, 16, v107
	s_waitcnt vmcnt(11)
	v_mul_f16_sdwa v191, v176, v181 dst_sel:DWORD dst_unused:UNUSED_PAD src0_sel:DWORD src1_sel:WORD_1
	v_fma_f16 v191, v107, v181, -v191
	v_mul_f16_sdwa v107, v107, v181 dst_sel:DWORD dst_unused:UNUSED_PAD src0_sel:DWORD src1_sel:WORD_1
	v_fma_f16 v107, v176, v181, v107
	s_waitcnt lgkmcnt(0)
	v_lshrrev_b32_e32 v176, 16, v178
	s_waitcnt vmcnt(10)
	v_mul_f16_sdwa v181, v176, v91 dst_sel:DWORD dst_unused:UNUSED_PAD src0_sel:DWORD src1_sel:WORD_1
	v_fma_f16 v181, v178, v91, -v181
	v_mul_f16_sdwa v178, v178, v91 dst_sel:DWORD dst_unused:UNUSED_PAD src0_sel:DWORD src1_sel:WORD_1
	v_fma_f16 v91, v176, v91, v178
	v_lshrrev_b32_e32 v176, 16, v106
	s_waitcnt vmcnt(6)
	v_mul_f16_sdwa v178, v176, v185 dst_sel:DWORD dst_unused:UNUSED_PAD src0_sel:DWORD src1_sel:WORD_1
	v_fma_f16 v178, v106, v185, -v178
	v_mul_f16_sdwa v106, v106, v185 dst_sel:DWORD dst_unused:UNUSED_PAD src0_sel:DWORD src1_sel:WORD_1
	v_fma_f16 v106, v176, v185, v106
	v_pack_b32_f16 v106, v178, v106
	ds_write2_b32 v109, v106, v100 offset0:90 offset1:225
	v_lshrrev_b32_e32 v100, 16, v104
	v_mul_f16_sdwa v106, v100, v184 dst_sel:DWORD dst_unused:UNUSED_PAD src0_sel:DWORD src1_sel:WORD_1
	v_fma_f16 v106, v104, v184, -v106
	v_mul_f16_sdwa v104, v104, v184 dst_sel:DWORD dst_unused:UNUSED_PAD src0_sel:DWORD src1_sel:WORD_1
	v_fma_f16 v100, v100, v184, v104
	v_pack_b32_f16 v100, v106, v100
	ds_write2_b32 v102, v100, v103 offset0:59 offset1:194
	v_lshrrev_b32_e32 v100, 16, v167
	v_mul_f16_sdwa v102, v100, v183 dst_sel:DWORD dst_unused:UNUSED_PAD src0_sel:DWORD src1_sel:WORD_1
	v_mul_f16_sdwa v103, v167, v183 dst_sel:DWORD dst_unused:UNUSED_PAD src0_sel:DWORD src1_sel:WORD_1
	v_fma_f16 v102, v167, v183, -v102
	v_fma_f16 v100, v100, v183, v103
	v_pack_b32_f16 v100, v102, v100
	ds_write2_b32 v96, v100, v105 offset0:28 offset1:163
	v_lshrrev_b32_e32 v100, 16, v169
	v_mul_f16_sdwa v102, v100, v182 dst_sel:DWORD dst_unused:UNUSED_PAD src0_sel:DWORD src1_sel:WORD_1
	v_mul_f16_sdwa v103, v169, v182 dst_sel:DWORD dst_unused:UNUSED_PAD src0_sel:DWORD src1_sel:WORD_1
	v_fma_f16 v102, v169, v182, -v102
	v_fma_f16 v100, v100, v182, v103
	v_pack_b32_f16 v100, v102, v100
	v_add_u32_e32 v102, 0xb00, v109
	ds_write2_b32 v102, v100, v166 offset0:61 offset1:196
	v_lshrrev_b32_e32 v100, 16, v171
	s_waitcnt vmcnt(2)
	v_mul_f16_sdwa v102, v100, v189 dst_sel:DWORD dst_unused:UNUSED_PAD src0_sel:DWORD src1_sel:WORD_1
	v_mul_f16_sdwa v103, v171, v189 dst_sel:DWORD dst_unused:UNUSED_PAD src0_sel:DWORD src1_sel:WORD_1
	v_fma_f16 v102, v171, v189, -v102
	v_fma_f16 v100, v100, v189, v103
	v_pack_b32_f16 v100, v102, v100
	v_add_u32_e32 v102, 0xe00, v109
	ds_write2_b32 v102, v100, v168 offset0:94 offset1:229
	v_lshrrev_b32_e32 v100, 16, v173
	v_mul_f16_sdwa v102, v100, v188 dst_sel:DWORD dst_unused:UNUSED_PAD src0_sel:DWORD src1_sel:WORD_1
	v_mul_f16_sdwa v103, v173, v188 dst_sel:DWORD dst_unused:UNUSED_PAD src0_sel:DWORD src1_sel:WORD_1
	v_fma_f16 v102, v173, v188, -v102
	v_fma_f16 v100, v100, v188, v103
	v_pack_b32_f16 v100, v102, v100
	ds_write2_b32 v101, v100, v170 offset0:63 offset1:198
	v_lshrrev_b32_e32 v100, 16, v175
	v_mul_f16_sdwa v101, v100, v187 dst_sel:DWORD dst_unused:UNUSED_PAD src0_sel:DWORD src1_sel:WORD_1
	v_mul_f16_sdwa v102, v175, v187 dst_sel:DWORD dst_unused:UNUSED_PAD src0_sel:DWORD src1_sel:WORD_1
	v_fma_f16 v101, v175, v187, -v101
	v_fma_f16 v100, v100, v187, v102
	v_pack_b32_f16 v100, v101, v100
	;; [unrolled: 7-line block ×3, first 2 shown]
	v_pack_b32_f16 v100, v101, v100
	v_add_u32_e32 v101, 0x1a00, v109
	ds_write2_b32 v101, v100, v107 offset0:1 offset1:136
	v_lshrrev_b32_e32 v100, 16, v108
	s_waitcnt vmcnt(0)
	v_mul_f16_sdwa v101, v100, v190 dst_sel:DWORD dst_unused:UNUSED_PAD src0_sel:DWORD src1_sel:WORD_1
	v_mul_f16_sdwa v102, v108, v190 dst_sel:DWORD dst_unused:UNUSED_PAD src0_sel:DWORD src1_sel:WORD_1
	v_fma_f16 v101, v108, v190, -v101
	v_fma_f16 v100, v100, v190, v102
	v_pack_b32_f16 v91, v181, v91
	v_pack_b32_f16 v100, v101, v100
	ds_write2_b32 v97, v100, v91 offset0:98 offset1:233
	v_lshrrev_b32_e32 v91, 16, v179
	v_mul_f16_sdwa v100, v91, v174 dst_sel:DWORD dst_unused:UNUSED_PAD src0_sel:DWORD src1_sel:WORD_1
	v_mul_f16_sdwa v101, v179, v174 dst_sel:DWORD dst_unused:UNUSED_PAD src0_sel:DWORD src1_sel:WORD_1
	v_fma_f16 v100, v179, v174, -v100
	v_fma_f16 v91, v91, v174, v101
	v_pack_b32_f16 v91, v100, v91
	ds_write_b32 v109, v91 offset:8460
	s_and_saveexec_b64 s[4:5], s[0:1]
	s_cbranch_execz .LBB0_17
; %bb.16:
	global_load_dword v91, v[89:90], off offset:720
	global_load_dword v102, v[89:90], off offset:1620
	;; [unrolled: 1-line block ×4, first 2 shown]
	v_add_co_u32_e32 v100, vcc, s6, v89
	v_addc_co_u32_e32 v101, vcc, 0, v90, vcc
	v_add_co_u32_e32 v89, vcc, 0x2000, v89
	global_load_dword v105, v[100:101], off offset:224
	global_load_dword v106, v[100:101], off offset:1124
	;; [unrolled: 1-line block ×5, first 2 shown]
	v_addc_co_u32_e32 v90, vcc, 0, v90, vcc
	global_load_dword v167, v[89:90], off offset:628
	v_add_u32_e32 v100, 0x280, v109
	ds_read2_b32 v[89:90], v100 offset0:20 offset1:245
	v_add_u32_e32 v101, 0x980, v109
	s_waitcnt lgkmcnt(0)
	v_lshrrev_b32_e32 v168, 16, v89
	v_lshrrev_b32_e32 v169, 16, v90
	s_waitcnt vmcnt(9)
	v_mul_f16_sdwa v170, v168, v91 dst_sel:DWORD dst_unused:UNUSED_PAD src0_sel:DWORD src1_sel:WORD_1
	v_mul_f16_sdwa v171, v89, v91 dst_sel:DWORD dst_unused:UNUSED_PAD src0_sel:DWORD src1_sel:WORD_1
	s_waitcnt vmcnt(8)
	v_mul_f16_sdwa v172, v169, v102 dst_sel:DWORD dst_unused:UNUSED_PAD src0_sel:DWORD src1_sel:WORD_1
	v_mul_f16_sdwa v173, v90, v102 dst_sel:DWORD dst_unused:UNUSED_PAD src0_sel:DWORD src1_sel:WORD_1
	v_fma_f16 v89, v89, v91, -v170
	v_fma_f16 v91, v168, v91, v171
	v_fma_f16 v90, v90, v102, -v172
	v_fma_f16 v102, v169, v102, v173
	v_pack_b32_f16 v89, v89, v91
	v_pack_b32_f16 v90, v90, v102
	ds_write2_b32 v100, v89, v90 offset0:20 offset1:245
	ds_read2_b32 v[89:90], v101 offset0:22 offset1:247
	v_add_u32_e32 v91, 0x1080, v109
	s_waitcnt lgkmcnt(0)
	v_lshrrev_b32_e32 v100, 16, v89
	s_waitcnt vmcnt(7)
	v_mul_f16_sdwa v102, v89, v103 dst_sel:DWORD dst_unused:UNUSED_PAD src0_sel:DWORD src1_sel:WORD_1
	v_lshrrev_b32_e32 v168, 16, v90
	s_waitcnt vmcnt(6)
	v_mul_f16_sdwa v169, v90, v104 dst_sel:DWORD dst_unused:UNUSED_PAD src0_sel:DWORD src1_sel:WORD_1
	v_mul_f16_sdwa v170, v100, v103 dst_sel:DWORD dst_unused:UNUSED_PAD src0_sel:DWORD src1_sel:WORD_1
	v_fma_f16 v100, v100, v103, v102
	v_mul_f16_sdwa v102, v168, v104 dst_sel:DWORD dst_unused:UNUSED_PAD src0_sel:DWORD src1_sel:WORD_1
	v_fma_f16 v168, v168, v104, v169
	v_fma_f16 v89, v89, v103, -v170
	v_fma_f16 v90, v90, v104, -v102
	v_pack_b32_f16 v89, v89, v100
	v_pack_b32_f16 v90, v90, v168
	ds_write2_b32 v101, v89, v90 offset0:22 offset1:247
	ds_read2_b32 v[89:90], v91 offset0:24 offset1:249
	v_add_u32_e32 v104, 0x1780, v109
	v_add_u32_e32 v168, 0x1e80, v109
	ds_read2_b32 v[100:101], v104 offset0:26 offset1:251
	ds_read2_b32 v[102:103], v168 offset0:28 offset1:253
	s_waitcnt lgkmcnt(2)
	v_lshrrev_b32_e32 v169, 16, v89
	s_waitcnt vmcnt(5)
	v_mul_f16_sdwa v170, v89, v105 dst_sel:DWORD dst_unused:UNUSED_PAD src0_sel:DWORD src1_sel:WORD_1
	v_lshrrev_b32_e32 v171, 16, v90
	s_waitcnt vmcnt(4)
	v_mul_f16_sdwa v172, v90, v106 dst_sel:DWORD dst_unused:UNUSED_PAD src0_sel:DWORD src1_sel:WORD_1
	s_waitcnt lgkmcnt(1)
	v_lshrrev_b32_e32 v173, 16, v100
	s_waitcnt vmcnt(3)
	v_mul_f16_sdwa v174, v100, v107 dst_sel:DWORD dst_unused:UNUSED_PAD src0_sel:DWORD src1_sel:WORD_1
	v_lshrrev_b32_e32 v175, 16, v101
	s_waitcnt vmcnt(2)
	v_mul_f16_sdwa v176, v101, v108 dst_sel:DWORD dst_unused:UNUSED_PAD src0_sel:DWORD src1_sel:WORD_1
	s_waitcnt lgkmcnt(0)
	v_lshrrev_b32_e32 v177, 16, v102
	s_waitcnt vmcnt(1)
	v_mul_f16_sdwa v178, v102, v166 dst_sel:DWORD dst_unused:UNUSED_PAD src0_sel:DWORD src1_sel:WORD_1
	v_lshrrev_b32_e32 v179, 16, v103
	v_mul_f16_sdwa v181, v169, v105 dst_sel:DWORD dst_unused:UNUSED_PAD src0_sel:DWORD src1_sel:WORD_1
	v_fma_f16 v169, v169, v105, v170
	v_mul_f16_sdwa v170, v171, v106 dst_sel:DWORD dst_unused:UNUSED_PAD src0_sel:DWORD src1_sel:WORD_1
	s_waitcnt vmcnt(0)
	v_mul_f16_sdwa v180, v103, v167 dst_sel:DWORD dst_unused:UNUSED_PAD src0_sel:DWORD src1_sel:WORD_1
	v_fma_f16 v171, v171, v106, v172
	v_mul_f16_sdwa v172, v173, v107 dst_sel:DWORD dst_unused:UNUSED_PAD src0_sel:DWORD src1_sel:WORD_1
	v_fma_f16 v173, v173, v107, v174
	;; [unrolled: 2-line block ×4, first 2 shown]
	v_mul_f16_sdwa v178, v179, v167 dst_sel:DWORD dst_unused:UNUSED_PAD src0_sel:DWORD src1_sel:WORD_1
	v_fma_f16 v89, v89, v105, -v181
	v_fma_f16 v90, v90, v106, -v170
	v_fma_f16 v179, v179, v167, v180
	v_fma_f16 v100, v100, v107, -v172
	v_fma_f16 v101, v101, v108, -v174
	;; [unrolled: 1-line block ×4, first 2 shown]
	v_pack_b32_f16 v89, v89, v169
	v_pack_b32_f16 v90, v90, v171
	v_pack_b32_f16 v100, v100, v173
	v_pack_b32_f16 v101, v101, v175
	v_pack_b32_f16 v102, v102, v177
	v_pack_b32_f16 v103, v103, v179
	ds_write2_b32 v91, v89, v90 offset0:24 offset1:249
	ds_write2_b32 v104, v100, v101 offset0:26 offset1:251
	;; [unrolled: 1-line block ×3, first 2 shown]
.LBB0_17:
	s_or_b64 exec, exec, s[4:5]
	v_add_u32_e32 v89, 0x600, v109
	s_waitcnt lgkmcnt(0)
	s_barrier
	ds_read2_b32 v[107:108], v109 offset1:90
	ds_read2_b32 v[103:104], v98 offset0:97 offset1:187
	ds_read2_b32 v[105:106], v89 offset0:66 offset1:156
	;; [unrolled: 1-line block ×9, first 2 shown]
	s_and_saveexec_b64 s[4:5], s[0:1]
	s_cbranch_execz .LBB0_19
; %bb.18:
	v_add_u32_e32 v43, 0x280, v109
	ds_read2_b32 v[85:86], v43 offset0:20 offset1:245
	v_add_u32_e32 v43, 0x980, v109
	ds_read2_b32 v[87:88], v43 offset0:22 offset1:247
	;; [unrolled: 2-line block ×3, first 2 shown]
	v_add_u32_e32 v43, 0x1780, v109
	v_add_u32_e32 v45, 0x1e80, v109
	ds_read2_b32 v[43:44], v43 offset0:26 offset1:251
	ds_read2_b32 v[45:46], v45 offset0:28 offset1:253
	s_waitcnt lgkmcnt(4)
	v_lshrrev_b32_e32 v162, 16, v85
	v_lshrrev_b32_e32 v161, 16, v86
	s_waitcnt lgkmcnt(3)
	v_lshrrev_b32_e32 v164, 16, v87
	v_lshrrev_b32_e32 v163, 16, v88
	;; [unrolled: 3-line block ×5, first 2 shown]
.LBB0_19:
	s_or_b64 exec, exec, s[4:5]
	s_waitcnt lgkmcnt(3)
	v_add_f16_e32 v166, v89, v93
	v_fma_f16 v166, v166, -0.5, v107
	s_waitcnt lgkmcnt(1)
	v_sub_f16_sdwa v167, v105, v97 dst_sel:DWORD dst_unused:UNUSED_PAD src0_sel:WORD_1 src1_sel:WORD_1
	s_mov_b32 s14, 0xbb9c
	s_movk_i32 s15, 0x3b9c
	v_fma_f16 v168, v167, s14, v166
	v_sub_f16_sdwa v169, v89, v93 dst_sel:DWORD dst_unused:UNUSED_PAD src0_sel:WORD_1 src1_sel:WORD_1
	s_mov_b32 s6, 0xb8b4
	v_sub_f16_e32 v170, v97, v93
	v_sub_f16_e32 v171, v105, v89
	v_fma_f16 v166, v167, s15, v166
	s_movk_i32 s16, 0x38b4
	v_fma_f16 v168, v169, s6, v168
	v_add_f16_e32 v170, v171, v170
	s_movk_i32 s7, 0x34f2
	v_fma_f16 v166, v169, s16, v166
	v_fma_f16 v168, v170, s7, v168
	;; [unrolled: 1-line block ×3, first 2 shown]
	v_add_f16_e32 v170, v105, v97
	v_fma_f16 v170, v170, -0.5, v107
	v_fma_f16 v171, v169, s15, v170
	v_fma_f16 v169, v169, s14, v170
	v_pk_add_f16 v184, v107, v105
	v_fma_f16 v171, v167, s6, v171
	v_sub_f16_e32 v172, v93, v97
	v_sub_f16_e32 v173, v89, v105
	v_fma_f16 v167, v167, s16, v169
	v_add_f16_sdwa v169, v89, v93 dst_sel:DWORD dst_unused:UNUSED_PAD src0_sel:WORD_1 src1_sel:WORD_1
	v_lshrrev_b32_e32 v107, 16, v107
	v_add_f16_e32 v172, v173, v172
	v_fma_f16 v169, v169, -0.5, v107
	v_sub_f16_e32 v170, v105, v97
	v_fma_f16 v171, v172, s7, v171
	v_fma_f16 v167, v172, s7, v167
	;; [unrolled: 1-line block ×3, first 2 shown]
	v_sub_f16_e32 v173, v89, v93
	v_sub_f16_sdwa v174, v105, v89 dst_sel:DWORD dst_unused:UNUSED_PAD src0_sel:WORD_1 src1_sel:WORD_1
	v_sub_f16_sdwa v175, v97, v93 dst_sel:DWORD dst_unused:UNUSED_PAD src0_sel:WORD_1 src1_sel:WORD_1
	v_fma_f16 v169, v170, s14, v169
	v_fma_f16 v172, v173, s16, v172
	v_add_f16_e32 v174, v174, v175
	v_fma_f16 v169, v173, s6, v169
	v_fma_f16 v172, v174, s7, v172
	;; [unrolled: 1-line block ×3, first 2 shown]
	v_add_f16_sdwa v174, v105, v97 dst_sel:DWORD dst_unused:UNUSED_PAD src0_sel:WORD_1 src1_sel:WORD_1
	v_fma_f16 v107, v174, -0.5, v107
	v_fma_f16 v174, v173, s14, v107
	v_sub_f16_sdwa v105, v89, v105 dst_sel:DWORD dst_unused:UNUSED_PAD src0_sel:WORD_1 src1_sel:WORD_1
	v_sub_f16_sdwa v175, v93, v97 dst_sel:DWORD dst_unused:UNUSED_PAD src0_sel:WORD_1 src1_sel:WORD_1
	v_fma_f16 v107, v173, s15, v107
	v_fma_f16 v174, v170, s16, v174
	v_add_f16_e32 v105, v105, v175
	v_fma_f16 v107, v170, s6, v107
	v_fma_f16 v174, v105, s7, v174
	;; [unrolled: 1-line block ×3, first 2 shown]
	v_add_f16_e32 v107, v91, v95
	v_fma_f16 v107, v107, -0.5, v103
	s_waitcnt lgkmcnt(0)
	v_sub_f16_sdwa v170, v101, v99 dst_sel:DWORD dst_unused:UNUSED_PAD src0_sel:WORD_1 src1_sel:WORD_1
	v_fma_f16 v173, v170, s14, v107
	v_sub_f16_sdwa v175, v91, v95 dst_sel:DWORD dst_unused:UNUSED_PAD src0_sel:WORD_1 src1_sel:WORD_1
	v_sub_f16_e32 v176, v99, v95
	v_sub_f16_e32 v177, v101, v91
	v_fma_f16 v107, v170, s15, v107
	v_fma_f16 v173, v175, s6, v173
	v_add_f16_e32 v176, v177, v176
	v_fma_f16 v107, v175, s16, v107
	v_fma_f16 v173, v176, s7, v173
	v_fma_f16 v107, v176, s7, v107
	v_add_f16_e32 v176, v101, v99
	v_fma_f16 v176, v176, -0.5, v103
	v_fma_f16 v177, v175, s15, v176
	v_fma_f16 v175, v175, s14, v176
	v_pk_add_f16 v185, v103, v101
	v_fma_f16 v177, v170, s6, v177
	v_sub_f16_e32 v178, v95, v99
	v_sub_f16_e32 v179, v91, v101
	v_fma_f16 v170, v170, s16, v175
	v_add_f16_sdwa v175, v91, v95 dst_sel:DWORD dst_unused:UNUSED_PAD src0_sel:WORD_1 src1_sel:WORD_1
	v_lshrrev_b32_e32 v103, 16, v103
	v_add_f16_e32 v178, v179, v178
	v_fma_f16 v175, v175, -0.5, v103
	v_sub_f16_e32 v176, v101, v99
	v_fma_f16 v177, v178, s7, v177
	v_fma_f16 v170, v178, s7, v170
	;; [unrolled: 1-line block ×3, first 2 shown]
	v_sub_f16_e32 v179, v91, v95
	v_sub_f16_sdwa v180, v101, v91 dst_sel:DWORD dst_unused:UNUSED_PAD src0_sel:WORD_1 src1_sel:WORD_1
	v_sub_f16_sdwa v181, v99, v95 dst_sel:DWORD dst_unused:UNUSED_PAD src0_sel:WORD_1 src1_sel:WORD_1
	v_fma_f16 v175, v176, s14, v175
	v_fma_f16 v178, v179, s16, v178
	v_add_f16_e32 v180, v180, v181
	v_fma_f16 v175, v179, s6, v175
	v_fma_f16 v178, v180, s7, v178
	;; [unrolled: 1-line block ×3, first 2 shown]
	v_add_f16_sdwa v180, v101, v99 dst_sel:DWORD dst_unused:UNUSED_PAD src0_sel:WORD_1 src1_sel:WORD_1
	v_fma_f16 v103, v180, -0.5, v103
	v_fma_f16 v180, v179, s14, v103
	v_sub_f16_sdwa v101, v91, v101 dst_sel:DWORD dst_unused:UNUSED_PAD src0_sel:WORD_1 src1_sel:WORD_1
	v_sub_f16_sdwa v181, v95, v99 dst_sel:DWORD dst_unused:UNUSED_PAD src0_sel:WORD_1 src1_sel:WORD_1
	v_fma_f16 v103, v179, s15, v103
	v_fma_f16 v180, v176, s16, v180
	v_add_f16_e32 v101, v101, v181
	v_fma_f16 v103, v176, s6, v103
	v_fma_f16 v180, v101, s7, v180
	;; [unrolled: 1-line block ×3, first 2 shown]
	v_mul_f16_e32 v179, 0xbb9c, v101
	v_mul_f16_e32 v101, 0xb4f2, v101
	;; [unrolled: 1-line block ×3, first 2 shown]
	s_movk_i32 s4, 0x3a79
	s_mov_b32 s17, 0xb4f2
	v_fma_f16 v101, v170, s15, v101
	v_fma_f16 v103, v173, s4, v103
	;; [unrolled: 1-line block ×3, first 2 shown]
	v_mul_f16_e32 v181, 0xb8b4, v175
	s_mov_b32 s5, 0xba79
	v_add_f16_e32 v192, v105, v101
	v_mul_f16_e32 v170, 0xba79, v175
	v_sub_f16_e32 v200, v105, v101
	v_add_f16_e32 v101, v90, v94
	v_add_f16_e32 v188, v168, v103
	v_fma_f16 v181, v107, s5, v181
	v_fma_f16 v107, v107, s16, v170
	v_sub_f16_e32 v194, v168, v103
	v_fma_f16 v101, v101, -0.5, v108
	v_sub_f16_sdwa v103, v106, v98 dst_sel:DWORD dst_unused:UNUSED_PAD src0_sel:WORD_1 src1_sel:WORD_1
	v_add_f16_e32 v187, v167, v179
	v_add_f16_e32 v189, v166, v181
	;; [unrolled: 1-line block ×3, first 2 shown]
	v_sub_f16_e32 v196, v167, v179
	v_sub_f16_e32 v197, v166, v181
	;; [unrolled: 1-line block ×3, first 2 shown]
	v_fma_f16 v105, v103, s14, v101
	v_sub_f16_sdwa v107, v90, v94 dst_sel:DWORD dst_unused:UNUSED_PAD src0_sel:WORD_1 src1_sel:WORD_1
	v_sub_f16_e32 v166, v98, v94
	v_sub_f16_e32 v167, v106, v90
	v_fma_f16 v101, v103, s15, v101
	v_fma_f16 v105, v107, s6, v105
	v_add_f16_e32 v166, v167, v166
	v_fma_f16 v101, v107, s16, v101
	v_fma_f16 v105, v166, s7, v105
	;; [unrolled: 1-line block ×3, first 2 shown]
	v_add_f16_e32 v166, v106, v98
	v_fma_f16 v166, v166, -0.5, v108
	v_fma_f16 v167, v107, s15, v166
	v_fma_f16 v107, v107, s14, v166
	v_mul_f16_e32 v176, 0xbb9c, v180
	v_pk_add_f16 v202, v108, v106
	v_fma_f16 v167, v103, s6, v167
	v_sub_f16_e32 v168, v94, v98
	v_sub_f16_e32 v169, v90, v106
	v_fma_f16 v103, v103, s16, v107
	v_add_f16_sdwa v107, v90, v94 dst_sel:DWORD dst_unused:UNUSED_PAD src0_sel:WORD_1 src1_sel:WORD_1
	v_lshrrev_b32_e32 v108, 16, v108
	v_fma_f16 v176, v177, s7, v176
	v_add_f16_e32 v168, v169, v168
	v_fma_f16 v107, v107, -0.5, v108
	v_sub_f16_e32 v166, v106, v98
	v_add_f16_e32 v186, v171, v176
	v_sub_f16_e32 v195, v171, v176
	v_fma_f16 v167, v168, s7, v167
	v_fma_f16 v103, v168, s7, v103
	;; [unrolled: 1-line block ×3, first 2 shown]
	v_sub_f16_e32 v169, v90, v94
	v_sub_f16_sdwa v170, v106, v90 dst_sel:DWORD dst_unused:UNUSED_PAD src0_sel:WORD_1 src1_sel:WORD_1
	v_sub_f16_sdwa v171, v98, v94 dst_sel:DWORD dst_unused:UNUSED_PAD src0_sel:WORD_1 src1_sel:WORD_1
	v_fma_f16 v107, v166, s14, v107
	v_fma_f16 v168, v169, s16, v168
	v_add_f16_e32 v170, v170, v171
	v_fma_f16 v107, v169, s6, v107
	v_fma_f16 v168, v170, s7, v168
	;; [unrolled: 1-line block ×3, first 2 shown]
	v_add_f16_sdwa v170, v106, v98 dst_sel:DWORD dst_unused:UNUSED_PAD src0_sel:WORD_1 src1_sel:WORD_1
	v_fma_f16 v108, v170, -0.5, v108
	v_fma_f16 v170, v169, s14, v108
	v_sub_f16_sdwa v106, v90, v106 dst_sel:DWORD dst_unused:UNUSED_PAD src0_sel:WORD_1 src1_sel:WORD_1
	v_sub_f16_sdwa v171, v94, v98 dst_sel:DWORD dst_unused:UNUSED_PAD src0_sel:WORD_1 src1_sel:WORD_1
	v_fma_f16 v108, v169, s15, v108
	v_fma_f16 v170, v166, s16, v170
	v_add_f16_e32 v106, v106, v171
	v_fma_f16 v108, v166, s6, v108
	v_mul_f16_e32 v173, 0x38b4, v173
	v_fma_f16 v170, v106, s7, v170
	v_fma_f16 v106, v106, s7, v108
	v_add_f16_e32 v108, v92, v96
	v_fma_f16 v173, v178, s4, v173
	v_fma_f16 v108, v108, -0.5, v104
	v_sub_f16_sdwa v166, v102, v100 dst_sel:DWORD dst_unused:UNUSED_PAD src0_sel:WORD_1 src1_sel:WORD_1
	v_add_f16_e32 v190, v172, v173
	v_sub_f16_e32 v198, v172, v173
	v_fma_f16 v169, v166, s14, v108
	v_sub_f16_sdwa v171, v92, v96 dst_sel:DWORD dst_unused:UNUSED_PAD src0_sel:WORD_1 src1_sel:WORD_1
	v_sub_f16_e32 v172, v100, v96
	v_sub_f16_e32 v173, v102, v92
	v_fma_f16 v108, v166, s15, v108
	v_fma_f16 v169, v171, s6, v169
	v_add_f16_e32 v172, v173, v172
	v_fma_f16 v108, v171, s16, v108
	v_fma_f16 v169, v172, s7, v169
	;; [unrolled: 1-line block ×3, first 2 shown]
	v_add_f16_e32 v172, v102, v100
	v_mul_f16_e32 v178, 0x34f2, v180
	v_fma_f16 v172, v172, -0.5, v104
	v_fma_f16 v177, v177, s15, v178
	v_fma_f16 v173, v171, s15, v172
	;; [unrolled: 1-line block ×3, first 2 shown]
	v_add_f16_e32 v191, v174, v177
	v_sub_f16_e32 v199, v174, v177
	v_pk_add_f16 v203, v104, v102
	v_fma_f16 v173, v166, s6, v173
	v_sub_f16_e32 v174, v96, v100
	v_sub_f16_e32 v175, v92, v102
	v_fma_f16 v166, v166, s16, v171
	v_add_f16_sdwa v171, v92, v96 dst_sel:DWORD dst_unused:UNUSED_PAD src0_sel:WORD_1 src1_sel:WORD_1
	v_lshrrev_b32_e32 v104, 16, v104
	v_add_f16_e32 v174, v175, v174
	v_fma_f16 v171, v171, -0.5, v104
	v_sub_f16_e32 v172, v102, v100
	v_fma_f16 v173, v174, s7, v173
	v_fma_f16 v166, v174, s7, v166
	;; [unrolled: 1-line block ×3, first 2 shown]
	v_sub_f16_e32 v175, v92, v96
	v_sub_f16_sdwa v176, v102, v92 dst_sel:DWORD dst_unused:UNUSED_PAD src0_sel:WORD_1 src1_sel:WORD_1
	v_sub_f16_sdwa v177, v100, v96 dst_sel:DWORD dst_unused:UNUSED_PAD src0_sel:WORD_1 src1_sel:WORD_1
	v_fma_f16 v171, v172, s14, v171
	v_fma_f16 v174, v175, s16, v174
	v_add_f16_e32 v176, v176, v177
	v_fma_f16 v171, v175, s6, v171
	v_fma_f16 v174, v176, s7, v174
	;; [unrolled: 1-line block ×3, first 2 shown]
	v_add_f16_sdwa v176, v102, v100 dst_sel:DWORD dst_unused:UNUSED_PAD src0_sel:WORD_1 src1_sel:WORD_1
	v_fma_f16 v104, v176, -0.5, v104
	v_fma_f16 v176, v175, s14, v104
	v_sub_f16_sdwa v102, v92, v102 dst_sel:DWORD dst_unused:UNUSED_PAD src0_sel:WORD_1 src1_sel:WORD_1
	v_sub_f16_sdwa v177, v96, v100 dst_sel:DWORD dst_unused:UNUSED_PAD src0_sel:WORD_1 src1_sel:WORD_1
	v_fma_f16 v104, v175, s15, v104
	v_fma_f16 v176, v172, s16, v176
	v_add_f16_e32 v102, v102, v177
	v_fma_f16 v104, v172, s6, v104
	v_fma_f16 v176, v102, s7, v176
	;; [unrolled: 1-line block ×3, first 2 shown]
	v_mul_f16_e32 v175, 0xbb9c, v102
	v_mul_f16_e32 v102, 0xb4f2, v102
	v_fma_f16 v102, v166, s15, v102
	v_mul_f16_e32 v104, 0xb8b4, v174
	v_mul_f16_e32 v172, 0xbb9c, v176
	v_fma_f16 v175, v166, s17, v175
	v_mul_f16_e32 v177, 0xb8b4, v171
	v_add_f16_e32 v210, v106, v102
	v_mul_f16_e32 v166, 0xba79, v171
	v_sub_f16_e32 v218, v106, v102
	v_add_f16_e32 v102, v83, v43
	v_fma_f16 v104, v169, s4, v104
	v_fma_f16 v172, v173, s7, v172
	v_add_f16_e32 v206, v103, v175
	v_fma_f16 v177, v108, s5, v177
	v_fma_f16 v108, v108, s16, v166
	v_sub_f16_e32 v214, v103, v175
	v_fma_f16 v103, v102, -0.5, v85
	v_sub_f16_e32 v166, v164, v138
	v_add_f16_e32 v204, v105, v104
	v_add_f16_e32 v205, v167, v172
	v_sub_f16_e32 v212, v105, v104
	v_sub_f16_e32 v213, v167, v172
	v_fma_f16 v102, v166, s14, v103
	v_sub_f16_e32 v167, v165, v160
	v_sub_f16_e32 v104, v87, v83
	;; [unrolled: 1-line block ×3, first 2 shown]
	v_fma_f16 v103, v166, s15, v103
	v_add_f16_e32 v104, v104, v105
	v_fma_f16 v103, v167, s16, v103
	v_fma_f16 v171, v104, s7, v103
	v_add_f16_e32 v103, v162, v164
	v_mul_f16_e32 v169, 0x38b4, v169
	v_add_f16_e32 v103, v103, v165
	v_fma_f16 v169, v174, s4, v169
	v_mul_f16_e32 v174, 0x34f2, v176
	v_add_f16_e32 v103, v103, v160
	v_add_f16_e32 v208, v168, v169
	v_fma_f16 v173, v173, s15, v174
	v_sub_f16_e32 v216, v168, v169
	v_add_f16_e32 v168, v103, v138
	v_add_f16_e32 v103, v165, v160
	;; [unrolled: 1-line block ×3, first 2 shown]
	v_sub_f16_e32 v217, v170, v173
	v_fma_f16 v102, v167, s6, v102
	v_fma_f16 v103, v103, -0.5, v162
	v_sub_f16_e32 v173, v87, v45
	v_fma_f16 v102, v104, s7, v102
	v_fma_f16 v104, v173, s15, v103
	v_sub_f16_e32 v174, v83, v43
	v_sub_f16_e32 v105, v164, v165
	;; [unrolled: 1-line block ×3, first 2 shown]
	v_fma_f16 v103, v173, s14, v103
	v_add_f16_e32 v105, v105, v106
	v_fma_f16 v103, v174, s6, v103
	v_fma_f16 v182, v105, s7, v103
	v_add_f16_e32 v103, v86, v88
	v_add_f16_e32 v103, v103, v84
	;; [unrolled: 1-line block ×5, first 2 shown]
	v_fma_f16 v104, v174, s16, v104
	v_fma_f16 v103, v103, -0.5, v86
	v_sub_f16_e32 v176, v163, v137
	v_add_f16_e32 v207, v101, v177
	v_sub_f16_e32 v215, v101, v177
	v_fma_f16 v169, v105, s7, v104
	v_fma_f16 v104, v176, s14, v103
	v_sub_f16_e32 v177, v159, v136
	v_sub_f16_e32 v105, v88, v84
	;; [unrolled: 1-line block ×3, first 2 shown]
	v_fma_f16 v103, v176, s15, v103
	v_fma_f16 v104, v177, s6, v104
	v_add_f16_e32 v105, v105, v106
	v_fma_f16 v103, v177, s16, v103
	v_fma_f16 v104, v105, s7, v104
	;; [unrolled: 1-line block ×3, first 2 shown]
	v_add_f16_e32 v103, v161, v163
	v_add_f16_e32 v103, v103, v159
	v_pk_add_f16 v89, v184, v89
	v_pk_add_f16 v91, v185, v91
	v_add_f16_e32 v103, v103, v136
	v_pk_add_f16 v89, v89, v93
	v_pk_add_f16 v91, v91, v95
	v_add_f16_e32 v172, v103, v137
	v_add_f16_e32 v103, v159, v136
	v_pk_add_f16 v89, v89, v97
	v_pk_add_f16 v91, v91, v99
	v_fma_f16 v103, v103, -0.5, v161
	v_sub_f16_e32 v179, v88, v46
	v_pk_add_f16 v184, v89, v91
	v_pack_b32_f16 v187, v187, v192
	v_pack_b32_f16 v186, v186, v191
	;; [unrolled: 1-line block ×3, first 2 shown]
	v_add_f16_e32 v211, v107, v108
	v_sub_f16_e32 v219, v107, v108
	v_fma_f16 v106, v179, s15, v103
	v_sub_f16_e32 v180, v84, v44
	v_sub_f16_e32 v107, v163, v159
	;; [unrolled: 1-line block ×3, first 2 shown]
	s_barrier
	ds_write2_b64 v131, v[184:185], v[186:187] offset1:1
	v_pk_add_f16 v185, v89, v91 neg_lo:[0,1] neg_hi:[0,1]
	v_pk_add_f16 v89, v202, v90
	v_fma_f16 v106, v180, s16, v106
	v_add_f16_e32 v107, v107, v108
	v_fma_f16 v103, v179, s14, v103
	v_pk_add_f16 v89, v89, v94
	v_fma_f16 v106, v107, s7, v106
	v_fma_f16 v103, v180, s6, v103
	v_pk_add_f16 v93, v89, v98
	v_pk_add_f16 v89, v203, v92
	v_add_f16_e32 v101, v85, v87
	v_fma_f16 v107, v107, s7, v103
	v_mul_f16_e32 v103, 0xb8b4, v106
	v_pk_add_f16 v89, v89, v96
	v_add_f16_e32 v101, v101, v83
	v_fma_f16 v175, v104, s4, v103
	v_mul_f16_e32 v104, 0x38b4, v104
	v_pack_b32_f16 v187, v195, v199
	v_pack_b32_f16 v186, v194, v198
	;; [unrolled: 1-line block ×3, first 2 shown]
	v_pk_add_f16 v94, v89, v100
	v_add_f16_e32 v101, v101, v43
	v_mul_f16_e32 v103, 0xb8b4, v107
	v_fma_f16 v178, v106, s4, v104
	v_mul_f16_e32 v104, 0xba79, v107
	ds_write2_b64 v131, v[184:185], v[186:187] offset0:2 offset1:3
	v_pack_b32_f16 v185, v197, v201
	v_pack_b32_f16 v184, v196, v200
	v_pk_add_f16 v89, v93, v94
	v_pack_b32_f16 v92, v206, v210
	v_pack_b32_f16 v91, v205, v209
	;; [unrolled: 1-line block ×3, first 2 shown]
	v_add_f16_e32 v101, v101, v45
	v_fma_f16 v181, v105, s5, v103
	v_fma_f16 v183, v105, s16, v104
	ds_write_b64 v131, v[184:185] offset:32
	ds_write2_b64 v135, v[89:90], v[91:92] offset1:1
	v_pk_add_f16 v90, v93, v94 neg_lo:[0,1] neg_hi:[0,1]
	v_pack_b32_f16 v92, v213, v217
	v_pack_b32_f16 v91, v212, v216
	;; [unrolled: 1-line block ×3, first 2 shown]
	v_add_f16_e32 v103, v171, v181
	v_add_f16_e32 v104, v182, v183
	v_sub_f16_e32 v105, v101, v170
	v_sub_f16_e32 v106, v102, v175
	;; [unrolled: 1-line block ×4, first 2 shown]
	ds_write2_b64 v135, v[89:90], v[91:92] offset0:2 offset1:3
	v_pack_b32_f16 v90, v215, v219
	v_pack_b32_f16 v89, v214, v218
	ds_write_b64 v135, v[89:90] offset:32
	s_and_saveexec_b64 s[4:5], s[0:1]
	s_cbranch_execz .LBB0_21
; %bb.20:
	v_sub_f16_e32 v44, v44, v46
	v_add_f16_e32 v46, v88, v46
	v_sub_f16_e32 v84, v84, v88
	v_fma_f16 v46, v46, -0.5, v86
	v_sub_f16_e32 v86, v159, v163
	v_sub_f16_e32 v88, v136, v137
	v_add_f16_e32 v44, v84, v44
	v_fma_f16 v84, v177, s14, v46
	v_add_f16_e32 v86, v86, v88
	v_add_f16_e32 v88, v163, v137
	v_fma_f16 v46, v177, s15, v46
	v_sub_f16_e32 v90, v165, v164
	v_sub_f16_e32 v91, v160, v138
	v_fma_f16 v84, v176, s16, v84
	v_fma_f16 v88, v88, -0.5, v161
	v_fma_f16 v46, v176, s6, v46
	v_sub_f16_e32 v43, v43, v45
	v_add_f16_e32 v45, v87, v45
	v_add_f16_e32 v90, v90, v91
	;; [unrolled: 1-line block ×3, first 2 shown]
	v_fma_f16 v84, v44, s7, v84
	v_fma_f16 v93, v180, s15, v88
	;; [unrolled: 1-line block ×4, first 2 shown]
	v_sub_f16_e32 v83, v83, v87
	v_fma_f16 v45, v45, -0.5, v85
	v_fma_f16 v91, v91, -0.5, v162
	v_fma_f16 v93, v179, s6, v93
	v_fma_f16 v46, v179, s16, v46
	v_add_f16_e32 v43, v83, v43
	v_fma_f16 v83, v167, s14, v45
	v_fma_f16 v45, v167, s15, v45
	;; [unrolled: 1-line block ×9, first 2 shown]
	v_mul_f16_e32 v94, 0xb4f2, v93
	v_fma_f16 v91, v173, s16, v91
	v_mul_f16_e32 v86, 0x34f2, v46
	v_fma_f16 v83, v43, s7, v83
	;; [unrolled: 2-line block ×4, first 2 shown]
	v_fma_f16 v94, v84, s15, v94
	v_fma_f16 v90, v90, s7, v91
	;; [unrolled: 1-line block ×5, first 2 shown]
	v_sub_f16_e32 v95, v92, v94
	v_sub_f16_e32 v88, v90, v86
	;; [unrolled: 1-line block ×4, first 2 shown]
	v_add_f16_e32 v45, v92, v94
	v_add_f16_e32 v46, v90, v86
	;; [unrolled: 1-line block ×8, first 2 shown]
	v_lshlrev_b32_e32 v93, 2, v134
	v_pack_b32_f16 v44, v83, v45
	v_pack_b32_f16 v43, v43, v46
	;; [unrolled: 1-line block ×4, first 2 shown]
	s_mov_b32 s6, 0x5040100
	v_sub_f16_e32 v89, v182, v183
	v_sub_f16_e32 v91, v171, v181
	ds_write2_b64 v93, v[45:46], v[43:44] offset1:1
	v_pack_b32_f16 v44, v87, v88
	v_perm_b32 v43, v107, v106, s6
	v_perm_b32 v46, v108, v105, s6
	;; [unrolled: 1-line block ×3, first 2 shown]
	ds_write2_b64 v93, v[45:46], v[43:44] offset0:2 offset1:3
	v_pack_b32_f16 v43, v85, v95
	v_pack_b32_f16 v44, v91, v89
	ds_write_b64 v93, v[43:44] offset:32
.LBB0_21:
	s_or_b64 exec, exec, s[4:5]
	v_add_u32_e32 v43, 0xa00, v109
	s_waitcnt lgkmcnt(0)
	s_barrier
	ds_read2_b32 v[99:100], v43 offset0:110 offset1:200
	v_add_u32_e32 v43, 0x1600, v109
	ds_read2_b32 v[101:102], v43 offset0:92 offset1:182
	v_add_u32_e32 v43, 0x200, v109
	;; [unrolled: 2-line block ×8, first 2 shown]
	v_add_u32_e32 v87, 0x1400, v109
	v_add_u32_e32 v89, 0x1e00, v109
	ds_read2_b32 v[85:86], v109 offset1:90
	ds_read2_b32 v[43:44], v43 offset0:28 offset1:118
	ds_read2_b32 v[87:88], v87 offset0:10 offset1:100
	;; [unrolled: 1-line block ×3, first 2 shown]
	s_and_saveexec_b64 s[4:5], s[2:3]
	s_cbranch_execz .LBB0_23
; %bb.22:
	ds_read_b32 v103, v109 offset:2880
	ds_read_b32 v105, v109 offset:5880
	;; [unrolled: 1-line block ×3, first 2 shown]
	s_waitcnt lgkmcnt(2)
	v_lshrrev_b32_e32 v104, 16, v103
	s_waitcnt lgkmcnt(1)
	v_lshrrev_b32_e32 v108, 16, v105
	;; [unrolled: 2-line block ×3, first 2 shown]
.LBB0_23:
	s_or_b64 exec, exec, s[4:5]
	s_waitcnt lgkmcnt(11)
	v_lshrrev_b32_e32 v134, 16, v99
	v_mul_f16_sdwa v177, v47, v134 dst_sel:DWORD dst_unused:UNUSED_PAD src0_sel:WORD_1 src1_sel:DWORD
	s_waitcnt lgkmcnt(10)
	v_lshrrev_b32_e32 v135, 16, v101
	v_fma_f16 v177, v47, v99, v177
	v_mul_f16_sdwa v99, v47, v99 dst_sel:DWORD dst_unused:UNUSED_PAD src0_sel:WORD_1 src1_sel:DWORD
	v_fma_f16 v47, v47, v134, -v99
	v_mul_f16_sdwa v99, v48, v135 dst_sel:DWORD dst_unused:UNUSED_PAD src0_sel:WORD_1 src1_sel:DWORD
	v_lshrrev_b32_e32 v137, 16, v100
	v_fma_f16 v99, v48, v101, v99
	v_mul_f16_sdwa v101, v48, v101 dst_sel:DWORD dst_unused:UNUSED_PAD src0_sel:WORD_1 src1_sel:DWORD
	v_fma_f16 v48, v48, v135, -v101
	v_mul_f16_sdwa v101, v49, v137 dst_sel:DWORD dst_unused:UNUSED_PAD src0_sel:WORD_1 src1_sel:DWORD
	v_lshrrev_b32_e32 v138, 16, v102
	v_fma_f16 v101, v49, v100, v101
	v_mul_f16_sdwa v100, v49, v100 dst_sel:DWORD dst_unused:UNUSED_PAD src0_sel:WORD_1 src1_sel:DWORD
	v_fma_f16 v49, v49, v137, -v100
	v_mul_f16_sdwa v100, v50, v138 dst_sel:DWORD dst_unused:UNUSED_PAD src0_sel:WORD_1 src1_sel:DWORD
	s_waitcnt lgkmcnt(8)
	v_lshrrev_b32_e32 v160, 16, v95
	v_fma_f16 v100, v50, v102, v100
	v_mul_f16_sdwa v102, v50, v102 dst_sel:DWORD dst_unused:UNUSED_PAD src0_sel:WORD_1 src1_sel:DWORD
	v_fma_f16 v50, v50, v138, -v102
	v_mul_f16_sdwa v102, v51, v160 dst_sel:DWORD dst_unused:UNUSED_PAD src0_sel:WORD_1 src1_sel:DWORD
	s_waitcnt lgkmcnt(7)
	v_lshrrev_b32_e32 v161, 16, v97
	v_fma_f16 v102, v51, v95, v102
	v_mul_f16_sdwa v95, v51, v95 dst_sel:DWORD dst_unused:UNUSED_PAD src0_sel:WORD_1 src1_sel:DWORD
	v_fma_f16 v95, v51, v160, -v95
	v_mul_f16_sdwa v51, v52, v161 dst_sel:DWORD dst_unused:UNUSED_PAD src0_sel:WORD_1 src1_sel:DWORD
	v_lshrrev_b32_e32 v163, 16, v96
	v_fma_f16 v134, v52, v97, v51
	v_mul_f16_sdwa v51, v52, v97 dst_sel:DWORD dst_unused:UNUSED_PAD src0_sel:WORD_1 src1_sel:DWORD
	v_fma_f16 v97, v52, v161, -v51
	v_mul_f16_sdwa v51, v53, v163 dst_sel:DWORD dst_unused:UNUSED_PAD src0_sel:WORD_1 src1_sel:DWORD
	v_lshrrev_b32_e32 v164, 16, v98
	v_fma_f16 v135, v53, v96, v51
	v_mul_f16_sdwa v51, v53, v96 dst_sel:DWORD dst_unused:UNUSED_PAD src0_sel:WORD_1 src1_sel:DWORD
	v_fma_f16 v96, v53, v163, -v51
	v_mul_f16_sdwa v51, v54, v164 dst_sel:DWORD dst_unused:UNUSED_PAD src0_sel:WORD_1 src1_sel:DWORD
	s_waitcnt lgkmcnt(5)
	v_lshrrev_b32_e32 v166, 16, v91
	v_fma_f16 v137, v54, v98, v51
	v_mul_f16_sdwa v51, v54, v98 dst_sel:DWORD dst_unused:UNUSED_PAD src0_sel:WORD_1 src1_sel:DWORD
	v_fma_f16 v98, v54, v164, -v51
	;; [unrolled: 22-line block ×3, first 2 shown]
	v_mul_f16_sdwa v51, v59, v172 dst_sel:DWORD dst_unused:UNUSED_PAD src0_sel:WORD_1 src1_sel:DWORD
	s_waitcnt lgkmcnt(0)
	v_lshrrev_b32_e32 v173, 16, v89
	v_fma_f16 v94, v59, v87, v51
	v_mul_f16_sdwa v51, v59, v87 dst_sel:DWORD dst_unused:UNUSED_PAD src0_sel:WORD_1 src1_sel:DWORD
	v_fma_f16 v59, v59, v172, -v51
	v_mul_f16_sdwa v51, v60, v173 dst_sel:DWORD dst_unused:UNUSED_PAD src0_sel:WORD_1 src1_sel:DWORD
	v_lshrrev_b32_e32 v175, 16, v88
	v_fma_f16 v87, v60, v89, v51
	v_mul_f16_sdwa v51, v60, v89 dst_sel:DWORD dst_unused:UNUSED_PAD src0_sel:WORD_1 src1_sel:DWORD
	v_fma_f16 v60, v60, v173, -v51
	v_mul_f16_sdwa v51, v61, v175 dst_sel:DWORD dst_unused:UNUSED_PAD src0_sel:WORD_1 src1_sel:DWORD
	;; [unrolled: 5-line block ×3, first 2 shown]
	v_mul_f16_sdwa v52, v63, v105 dst_sel:DWORD dst_unused:UNUSED_PAD src0_sel:WORD_1 src1_sel:DWORD
	v_fma_f16 v88, v62, v90, v51
	v_mul_f16_sdwa v51, v62, v90 dst_sel:DWORD dst_unused:UNUSED_PAD src0_sel:WORD_1 src1_sel:DWORD
	v_fma_f16 v53, v63, v108, -v52
	v_mul_f16_sdwa v52, v64, v107 dst_sel:DWORD dst_unused:UNUSED_PAD src0_sel:WORD_1 src1_sel:DWORD
	v_mul_f16_sdwa v54, v64, v106 dst_sel:DWORD dst_unused:UNUSED_PAD src0_sel:WORD_1 src1_sel:DWORD
	v_fma_f16 v62, v62, v176, -v51
	v_mul_f16_sdwa v51, v63, v108 dst_sel:DWORD dst_unused:UNUSED_PAD src0_sel:WORD_1 src1_sel:DWORD
	v_fma_f16 v52, v64, v106, v52
	v_fma_f16 v54, v64, v107, -v54
	v_add_f16_e32 v64, v177, v99
	v_lshrrev_b32_e32 v131, 16, v85
	v_fma_f16 v51, v63, v105, v51
	v_add_f16_e32 v63, v85, v177
	v_fma_f16 v64, v64, -0.5, v85
	v_sub_f16_e32 v85, v47, v48
	s_mov_b32 s4, 0xbaee
	s_movk_i32 s5, 0x3aee
	v_fma_f16 v90, v85, s4, v64
	v_fma_f16 v64, v85, s5, v64
	v_add_f16_e32 v85, v131, v47
	v_add_f16_e32 v47, v47, v48
	;; [unrolled: 1-line block ×3, first 2 shown]
	v_fma_f16 v47, v47, -0.5, v131
	v_sub_f16_e32 v48, v177, v99
	v_add_f16_e32 v63, v63, v99
	v_fma_f16 v99, v48, s5, v47
	v_fma_f16 v105, v48, s4, v47
	v_add_f16_e32 v47, v86, v101
	v_add_f16_e32 v106, v47, v100
	v_add_f16_e32 v47, v101, v100
	v_lshrrev_b32_e32 v136, 16, v86
	v_fma_f16 v47, v47, -0.5, v86
	v_sub_f16_e32 v48, v49, v50
	v_fma_f16 v86, v48, s4, v47
	v_fma_f16 v107, v48, s5, v47
	v_add_f16_e32 v47, v136, v49
	v_add_f16_e32 v108, v47, v50
	v_add_f16_e32 v47, v49, v50
	v_fma_f16 v47, v47, -0.5, v136
	v_sub_f16_e32 v48, v101, v100
	v_fma_f16 v100, v48, s5, v47
	v_fma_f16 v101, v48, s4, v47
	v_add_f16_e32 v47, v83, v102
	v_add_f16_e32 v131, v47, v134
	v_add_f16_e32 v47, v102, v134
	v_lshrrev_b32_e32 v159, 16, v83
	v_fma_f16 v47, v47, -0.5, v83
	v_sub_f16_e32 v48, v95, v97
	v_fma_f16 v83, v48, s4, v47
	v_fma_f16 v136, v48, s5, v47
	v_add_f16_e32 v47, v159, v95
	v_add_f16_e32 v160, v47, v97
	v_add_f16_e32 v47, v95, v97
	v_fma_f16 v47, v47, -0.5, v159
	v_sub_f16_e32 v48, v102, v134
	;; [unrolled: 15-line block ×5, first 2 shown]
	v_fma_f16 v55, v48, s5, v47
	v_fma_f16 v56, v48, s4, v47
	v_add_f16_e32 v47, v43, v94
	v_add_f16_e32 v92, v47, v87
	;; [unrolled: 1-line block ×3, first 2 shown]
	v_lshrrev_b32_e32 v171, 16, v43
	v_fma_f16 v43, v47, -0.5, v43
	v_sub_f16_e32 v47, v59, v60
	v_fma_f16 v93, v47, s4, v43
	v_fma_f16 v43, v47, s5, v43
	v_add_f16_e32 v47, v171, v59
	v_add_f16_e32 v163, v47, v60
	;; [unrolled: 1-line block ×3, first 2 shown]
	v_pack_b32_f16 v63, v63, v85
	v_pack_b32_f16 v85, v90, v99
	v_fma_f16 v47, v47, -0.5, v171
	v_sub_f16_e32 v48, v94, v87
	s_barrier
	ds_write2_b32 v139, v63, v85 offset1:10
	v_pack_b32_f16 v63, v64, v105
	v_fma_f16 v59, v48, s5, v47
	v_fma_f16 v60, v48, s4, v47
	v_add_f16_e32 v47, v44, v89
	ds_write_b32 v139, v63 offset:80
	v_pack_b32_f16 v63, v106, v108
	v_pack_b32_f16 v64, v86, v100
	v_add_f16_e32 v87, v47, v88
	v_add_f16_e32 v47, v89, v88
	ds_write2_b32 v140, v63, v64 offset1:10
	v_pack_b32_f16 v63, v107, v101
	v_lshrrev_b32_e32 v174, 16, v44
	v_fma_f16 v44, v47, -0.5, v44
	v_sub_f16_e32 v47, v61, v62
	ds_write_b32 v140, v63 offset:80
	v_pack_b32_f16 v63, v131, v160
	v_pack_b32_f16 v64, v83, v95
	v_fma_f16 v94, v47, s4, v44
	v_fma_f16 v44, v47, s5, v44
	v_add_f16_e32 v47, v174, v61
	ds_write2_b32 v141, v63, v64 offset1:10
	v_pack_b32_f16 v63, v136, v97
	v_add_f16_e32 v164, v47, v62
	v_add_f16_e32 v47, v61, v62
	ds_write_b32 v141, v63 offset:80
	v_pack_b32_f16 v63, v102, v159
	v_pack_b32_f16 v64, v84, v96
	v_fma_f16 v47, v47, -0.5, v174
	v_sub_f16_e32 v48, v89, v88
	ds_write2_b32 v142, v63, v64 offset1:10
	v_pack_b32_f16 v63, v134, v98
	v_pack_b32_f16 v45, v45, v58
	v_fma_f16 v61, v48, s5, v47
	v_fma_f16 v62, v48, s4, v47
	v_add_f16_e32 v47, v51, v52
	ds_write_b32 v142, v63 offset:80
	v_pack_b32_f16 v63, v135, v161
	v_pack_b32_f16 v57, v137, v57
	ds_write_b32 v143, v45 offset:80
	v_pack_b32_f16 v45, v91, v162
	v_pack_b32_f16 v55, v138, v55
	v_fma_f16 v48, v47, -0.5, v103
	v_sub_f16_e32 v49, v53, v54
	ds_write2_b32 v143, v63, v57 offset1:10
	ds_write2_b32 v144, v45, v55 offset1:10
	v_pack_b32_f16 v45, v46, v56
	v_fma_f16 v47, v49, s4, v48
	v_fma_f16 v48, v49, s5, v48
	v_add_f16_e32 v49, v53, v54
	ds_write_b32 v144, v45 offset:80
	v_pack_b32_f16 v45, v92, v163
	v_pack_b32_f16 v46, v93, v59
	;; [unrolled: 1-line block ×3, first 2 shown]
	v_fma_f16 v50, v49, -0.5, v104
	v_sub_f16_e32 v88, v51, v52
	ds_write2_b32 v145, v45, v46 offset1:10
	ds_write_b32 v145, v43 offset:80
	v_pack_b32_f16 v43, v87, v164
	v_pack_b32_f16 v45, v94, v61
	v_fma_f16 v49, v88, s5, v50
	v_fma_f16 v50, v88, s4, v50
	ds_write2_b32 v146, v43, v45 offset1:10
	v_pack_b32_f16 v43, v44, v62
	ds_write_b32 v146, v43 offset:80
	s_and_saveexec_b64 s[4:5], s[2:3]
	s_cbranch_execz .LBB0_25
; %bb.24:
	v_add_f16_e32 v43, v104, v53
	v_add_f16_e32 v44, v103, v51
	;; [unrolled: 1-line block ×4, first 2 shown]
	v_mad_legacy_u16 v45, v132, 30, v133
	s_mov_b32 s6, 0x5040100
	v_lshlrev_b32_e32 v45, 2, v45
	v_pack_b32_f16 v43, v44, v43
	v_perm_b32 v44, v49, v47, s6
	ds_write2_b32 v45, v43, v44 offset1:10
	v_perm_b32 v43, v50, v48, s6
	ds_write_b32 v45, v43 offset:80
.LBB0_25:
	s_or_b64 exec, exec, s[4:5]
	v_add_u32_e32 v89, 0x400, v109
	s_waitcnt lgkmcnt(0)
	s_barrier
	ds_read2_b32 v[45:46], v89 offset0:104 offset1:194
	v_add_u32_e32 v92, 0xc00, v109
	ds_read2_b32 v[51:52], v92 offset0:132 offset1:222
	v_add_u32_e32 v53, 0x1200, v109
	ds_read2_b32 v[53:54], v53 offset0:108 offset1:198
	s_waitcnt lgkmcnt(2)
	v_lshrrev_b32_e32 v91, 16, v46
	v_add_u32_e32 v93, 0x1c00, v109
	ds_read2_b32 v[55:56], v93 offset0:8 offset1:98
	v_mul_f16_sdwa v159, v0, v91 dst_sel:DWORD dst_unused:UNUSED_PAD src0_sel:WORD_1 src1_sel:DWORD
	v_add_u32_e32 v94, 0x800, v109
	s_waitcnt lgkmcnt(2)
	v_lshrrev_b32_e32 v95, 16, v51
	v_fma_f16 v159, v0, v46, v159
	v_mul_f16_sdwa v46, v0, v46 dst_sel:DWORD dst_unused:UNUSED_PAD src0_sel:WORD_1 src1_sel:DWORD
	ds_read2_b32 v[57:58], v94 offset0:28 offset1:118
	v_fma_f16 v0, v0, v91, -v46
	v_mul_f16_sdwa v46, v1, v95 dst_sel:DWORD dst_unused:UNUSED_PAD src0_sel:WORD_1 src1_sel:DWORD
	s_waitcnt lgkmcnt(2)
	v_lshrrev_b32_e32 v96, 16, v54
	v_fma_f16 v46, v1, v51, v46
	v_mul_f16_sdwa v51, v1, v51 dst_sel:DWORD dst_unused:UNUSED_PAD src0_sel:WORD_1 src1_sel:DWORD
	v_fma_f16 v1, v1, v95, -v51
	v_mul_f16_sdwa v51, v2, v96 dst_sel:DWORD dst_unused:UNUSED_PAD src0_sel:WORD_1 src1_sel:DWORD
	s_waitcnt lgkmcnt(1)
	v_lshrrev_b32_e32 v97, 16, v55
	v_add_u32_e32 v101, 0x1400, v109
	v_fma_f16 v51, v2, v54, v51
	v_mul_f16_sdwa v54, v2, v54 dst_sel:DWORD dst_unused:UNUSED_PAD src0_sel:WORD_1 src1_sel:DWORD
	ds_read2_b32 v[59:60], v101 offset0:160 offset1:250
	v_fma_f16 v2, v2, v96, -v54
	v_mul_f16_sdwa v54, v3, v97 dst_sel:DWORD dst_unused:UNUSED_PAD src0_sel:WORD_1 src1_sel:DWORD
	s_waitcnt lgkmcnt(1)
	v_lshrrev_b32_e32 v99, 16, v57
	v_fma_f16 v54, v3, v55, v54
	v_mul_f16_sdwa v55, v3, v55 dst_sel:DWORD dst_unused:UNUSED_PAD src0_sel:WORD_1 src1_sel:DWORD
	v_fma_f16 v3, v3, v97, -v55
	v_mul_f16_sdwa v55, v4, v99 dst_sel:DWORD dst_unused:UNUSED_PAD src0_sel:WORD_1 src1_sel:DWORD
	v_lshrrev_b32_e32 v100, 16, v52
	v_fma_f16 v55, v4, v57, v55
	v_mul_f16_sdwa v57, v4, v57 dst_sel:DWORD dst_unused:UNUSED_PAD src0_sel:WORD_1 src1_sel:DWORD
	v_fma_f16 v4, v4, v99, -v57
	v_mul_f16_sdwa v57, v5, v100 dst_sel:DWORD dst_unused:UNUSED_PAD src0_sel:WORD_1 src1_sel:DWORD
	v_add_u32_e32 v103, 0x1000, v109
	s_waitcnt lgkmcnt(0)
	v_lshrrev_b32_e32 v104, 16, v59
	v_fma_f16 v57, v5, v52, v57
	v_mul_f16_sdwa v52, v5, v52 dst_sel:DWORD dst_unused:UNUSED_PAD src0_sel:WORD_1 src1_sel:DWORD
	ds_read2_b32 v[63:64], v103 offset0:56 offset1:146
	v_fma_f16 v5, v5, v100, -v52
	v_mul_f16_sdwa v52, v6, v104 dst_sel:DWORD dst_unused:UNUSED_PAD src0_sel:WORD_1 src1_sel:DWORD
	v_lshrrev_b32_e32 v105, 16, v56
	v_fma_f16 v52, v6, v59, v52
	v_mul_f16_sdwa v59, v6, v59 dst_sel:DWORD dst_unused:UNUSED_PAD src0_sel:WORD_1 src1_sel:DWORD
	v_fma_f16 v6, v6, v104, -v59
	v_mul_f16_sdwa v59, v7, v105 dst_sel:DWORD dst_unused:UNUSED_PAD src0_sel:WORD_1 src1_sel:DWORD
	v_lshrrev_b32_e32 v107, 16, v58
	v_add_u32_e32 v132, 0x1e00, v109
	v_fma_f16 v59, v7, v56, v59
	v_mul_f16_sdwa v56, v7, v56 dst_sel:DWORD dst_unused:UNUSED_PAD src0_sel:WORD_1 src1_sel:DWORD
	ds_read2_b32 v[83:84], v132 offset0:60 offset1:150
	v_fma_f16 v7, v7, v105, -v56
	v_mul_f16_sdwa v56, v8, v107 dst_sel:DWORD dst_unused:UNUSED_PAD src0_sel:WORD_1 src1_sel:DWORD
	s_waitcnt lgkmcnt(1)
	v_lshrrev_b32_e32 v108, 16, v63
	v_add_u32_e32 v133, 0xa00, v109
	v_fma_f16 v56, v8, v58, v56
	v_mul_f16_sdwa v58, v8, v58 dst_sel:DWORD dst_unused:UNUSED_PAD src0_sel:WORD_1 src1_sel:DWORD
	ds_read2_b32 v[85:86], v133 offset0:80 offset1:170
	v_fma_f16 v8, v8, v107, -v58
	v_mul_f16_sdwa v58, v9, v108 dst_sel:DWORD dst_unused:UNUSED_PAD src0_sel:WORD_1 src1_sel:DWORD
	v_lshrrev_b32_e32 v131, 16, v60
	v_fma_f16 v58, v9, v63, v58
	v_mul_f16_sdwa v63, v9, v63 dst_sel:DWORD dst_unused:UNUSED_PAD src0_sel:WORD_1 src1_sel:DWORD
	v_fma_f16 v9, v9, v108, -v63
	v_mul_f16_sdwa v63, v10, v131 dst_sel:DWORD dst_unused:UNUSED_PAD src0_sel:WORD_1 src1_sel:DWORD
	v_add_u32_e32 v134, 0x1800, v109
	s_waitcnt lgkmcnt(1)
	v_lshrrev_b32_e32 v135, 16, v83
	v_fma_f16 v63, v10, v60, v63
	v_mul_f16_sdwa v60, v10, v60 dst_sel:DWORD dst_unused:UNUSED_PAD src0_sel:WORD_1 src1_sel:DWORD
	ds_read2_b32 v[87:88], v134 offset0:84 offset1:174
	v_fma_f16 v10, v10, v131, -v60
	v_mul_f16_sdwa v60, v11, v135 dst_sel:DWORD dst_unused:UNUSED_PAD src0_sel:WORD_1 src1_sel:DWORD
	s_waitcnt lgkmcnt(1)
	v_lshrrev_b32_e32 v137, 16, v85
	v_fma_f16 v60, v11, v83, v60
	v_mul_f16_sdwa v83, v11, v83 dst_sel:DWORD dst_unused:UNUSED_PAD src0_sel:WORD_1 src1_sel:DWORD
	v_fma_f16 v11, v11, v135, -v83
	v_mul_f16_sdwa v83, v12, v137 dst_sel:DWORD dst_unused:UNUSED_PAD src0_sel:WORD_1 src1_sel:DWORD
	v_lshrrev_b32_e32 v138, 16, v64
	v_fma_f16 v83, v12, v85, v83
	v_mul_f16_sdwa v85, v12, v85 dst_sel:DWORD dst_unused:UNUSED_PAD src0_sel:WORD_1 src1_sel:DWORD
	v_fma_f16 v12, v12, v137, -v85
	v_mul_f16_sdwa v85, v13, v138 dst_sel:DWORD dst_unused:UNUSED_PAD src0_sel:WORD_1 src1_sel:DWORD
	s_waitcnt lgkmcnt(0)
	v_lshrrev_b32_e32 v139, 16, v87
	v_fma_f16 v85, v13, v64, v85
	v_mul_f16_sdwa v64, v13, v64 dst_sel:DWORD dst_unused:UNUSED_PAD src0_sel:WORD_1 src1_sel:DWORD
	v_fma_f16 v13, v13, v138, -v64
	v_mul_f16_sdwa v64, v14, v139 dst_sel:DWORD dst_unused:UNUSED_PAD src0_sel:WORD_1 src1_sel:DWORD
	v_lshrrev_b32_e32 v140, 16, v84
	v_fma_f16 v64, v14, v87, v64
	v_mul_f16_sdwa v87, v14, v87 dst_sel:DWORD dst_unused:UNUSED_PAD src0_sel:WORD_1 src1_sel:DWORD
	v_fma_f16 v14, v14, v139, -v87
	v_mul_f16_sdwa v87, v15, v140 dst_sel:DWORD dst_unused:UNUSED_PAD src0_sel:WORD_1 src1_sel:DWORD
	ds_read2_b32 v[43:44], v109 offset1:90
	v_lshrrev_b32_e32 v143, 16, v86
	v_fma_f16 v87, v15, v84, v87
	v_mul_f16_sdwa v84, v15, v84 dst_sel:DWORD dst_unused:UNUSED_PAD src0_sel:WORD_1 src1_sel:DWORD
	ds_read_b32 v141, v109 offset:8640
	v_fma_f16 v15, v15, v140, -v84
	v_mul_f16_sdwa v84, v16, v143 dst_sel:DWORD dst_unused:UNUSED_PAD src0_sel:WORD_1 src1_sel:DWORD
	v_lshrrev_b32_e32 v144, 16, v53
	v_fma_f16 v84, v16, v86, v84
	v_mul_f16_sdwa v86, v16, v86 dst_sel:DWORD dst_unused:UNUSED_PAD src0_sel:WORD_1 src1_sel:DWORD
	v_fma_f16 v16, v16, v143, -v86
	v_mul_f16_sdwa v86, v17, v144 dst_sel:DWORD dst_unused:UNUSED_PAD src0_sel:WORD_1 src1_sel:DWORD
	v_lshrrev_b32_e32 v145, 16, v88
	v_fma_f16 v86, v17, v53, v86
	v_mul_f16_sdwa v53, v17, v53 dst_sel:DWORD dst_unused:UNUSED_PAD src0_sel:WORD_1 src1_sel:DWORD
	v_add_f16_e32 v95, v46, v51
	v_fma_f16 v17, v17, v144, -v53
	v_mul_f16_sdwa v53, v18, v145 dst_sel:DWORD dst_unused:UNUSED_PAD src0_sel:WORD_1 src1_sel:DWORD
	s_waitcnt lgkmcnt(1)
	v_fma_f16 v95, v95, -0.5, v43
	v_sub_f16_e32 v96, v0, v3
	s_mov_b32 s5, 0xbb9c
	s_movk_i32 s7, 0x3b9c
	s_waitcnt lgkmcnt(0)
	v_lshrrev_b32_e32 v146, 16, v141
	v_fma_f16 v53, v18, v88, v53
	v_mul_f16_sdwa v88, v18, v88 dst_sel:DWORD dst_unused:UNUSED_PAD src0_sel:WORD_1 src1_sel:DWORD
	v_fma_f16 v97, v96, s5, v95
	v_sub_f16_e32 v99, v1, v2
	s_mov_b32 s4, 0xb8b4
	v_sub_f16_e32 v100, v159, v46
	v_sub_f16_e32 v104, v54, v51
	v_fma_f16 v95, v96, s7, v95
	s_movk_i32 s14, 0x38b4
	v_fma_f16 v18, v18, v145, -v88
	v_mul_f16_sdwa v88, v19, v146 dst_sel:DWORD dst_unused:UNUSED_PAD src0_sel:WORD_1 src1_sel:DWORD
	v_mul_f16_sdwa v91, v19, v141 dst_sel:DWORD dst_unused:UNUSED_PAD src0_sel:WORD_1 src1_sel:DWORD
	v_fma_f16 v97, v99, s4, v97
	v_add_f16_e32 v100, v100, v104
	s_movk_i32 s6, 0x34f2
	v_fma_f16 v95, v99, s14, v95
	v_fma_f16 v88, v19, v141, v88
	v_fma_f16 v19, v19, v146, -v91
	v_add_f16_e32 v91, v43, v159
	v_fma_f16 v97, v100, s6, v97
	v_fma_f16 v95, v100, s6, v95
	v_add_f16_e32 v100, v159, v54
	v_lshrrev_b32_e32 v90, 16, v43
	v_add_f16_e32 v91, v91, v46
	v_fma_f16 v43, v100, -0.5, v43
	v_add_f16_e32 v91, v91, v51
	v_fma_f16 v100, v99, s7, v43
	v_sub_f16_e32 v104, v46, v159
	v_sub_f16_e32 v105, v51, v54
	v_fma_f16 v43, v99, s5, v43
	v_add_f16_e32 v99, v1, v2
	v_add_f16_e32 v91, v91, v54
	v_fma_f16 v100, v96, s4, v100
	v_add_f16_e32 v104, v104, v105
	v_fma_f16 v43, v96, s14, v43
	v_fma_f16 v99, v99, -0.5, v90
	v_sub_f16_e32 v54, v159, v54
	v_fma_f16 v100, v104, s6, v100
	v_fma_f16 v43, v104, s6, v43
	;; [unrolled: 1-line block ×3, first 2 shown]
	v_sub_f16_e32 v46, v46, v51
	v_fma_f16 v51, v46, s14, v104
	v_sub_f16_e32 v104, v0, v1
	v_sub_f16_e32 v105, v3, v2
	v_add_f16_e32 v104, v104, v105
	v_fma_f16 v105, v104, s6, v51
	v_fma_f16 v51, v54, s5, v99
	v_add_f16_e32 v96, v90, v0
	v_fma_f16 v51, v46, s4, v51
	v_add_f16_e32 v96, v96, v1
	;; [unrolled: 2-line block ×3, first 2 shown]
	v_add_f16_e32 v96, v96, v2
	v_fma_f16 v51, v51, -0.5, v90
	v_add_f16_e32 v96, v96, v3
	v_fma_f16 v90, v46, s5, v51
	v_sub_f16_e32 v0, v1, v0
	v_sub_f16_e32 v1, v2, v3
	v_add_f16_e32 v3, v57, v52
	v_fma_f16 v90, v54, s14, v90
	v_add_f16_e32 v0, v0, v1
	v_fma_f16 v2, v46, s7, v51
	v_fma_f16 v3, v3, -0.5, v44
	v_sub_f16_e32 v46, v4, v7
	v_fma_f16 v1, v0, s6, v90
	v_fma_f16 v2, v54, s4, v2
	;; [unrolled: 1-line block ×3, first 2 shown]
	v_sub_f16_e32 v54, v5, v6
	v_sub_f16_e32 v90, v55, v57
	;; [unrolled: 1-line block ×3, first 2 shown]
	v_fma_f16 v51, v54, s4, v51
	v_add_f16_e32 v90, v90, v104
	v_fma_f16 v104, v90, s6, v51
	v_fma_f16 v3, v46, s7, v3
	v_add_f16_e32 v51, v55, v59
	v_lshrrev_b32_e32 v98, 16, v44
	v_fma_f16 v0, v0, s6, v2
	v_add_f16_e32 v2, v44, v55
	v_fma_f16 v3, v54, s14, v3
	v_fma_f16 v44, v51, -0.5, v44
	v_fma_f16 v3, v90, s6, v3
	v_fma_f16 v51, v54, s7, v44
	v_sub_f16_e32 v90, v57, v55
	v_sub_f16_e32 v107, v52, v59
	v_fma_f16 v51, v46, s4, v51
	v_add_f16_e32 v90, v90, v107
	v_add_f16_e32 v2, v2, v57
	v_fma_f16 v107, v90, s6, v51
	v_add_f16_e32 v51, v5, v6
	v_add_u32_e32 v102, 0x200, v109
	v_add_f16_e32 v2, v2, v52
	v_fma_f16 v44, v54, s5, v44
	v_fma_f16 v51, v51, -0.5, v98
	v_sub_f16_e32 v54, v55, v59
	ds_read2_b32 v[61:62], v102 offset0:52 offset1:142
	v_add_f16_e32 v2, v2, v59
	v_fma_f16 v55, v54, s7, v51
	v_sub_f16_e32 v52, v57, v52
	v_sub_f16_e32 v57, v4, v5
	;; [unrolled: 1-line block ×3, first 2 shown]
	v_fma_f16 v51, v54, s5, v51
	v_fma_f16 v44, v46, s14, v44
	v_add_f16_e32 v46, v98, v4
	v_fma_f16 v55, v52, s14, v55
	v_add_f16_e32 v57, v57, v59
	;; [unrolled: 2-line block ×3, first 2 shown]
	v_fma_f16 v55, v57, s6, v55
	v_fma_f16 v57, v57, s6, v51
	v_add_f16_e32 v51, v4, v7
	v_add_f16_e32 v46, v46, v6
	v_fma_f16 v51, v51, -0.5, v98
	v_add_f16_e32 v46, v46, v7
	v_fma_f16 v59, v52, s5, v51
	v_sub_f16_e32 v4, v5, v4
	v_sub_f16_e32 v5, v6, v7
	v_add_f16_e32 v7, v58, v63
	v_fma_f16 v59, v54, s14, v59
	v_add_f16_e32 v4, v4, v5
	v_fma_f16 v6, v52, s7, v51
	s_waitcnt lgkmcnt(0)
	v_fma_f16 v7, v7, -0.5, v61
	v_sub_f16_e32 v51, v8, v11
	v_fma_f16 v44, v90, s6, v44
	v_fma_f16 v5, v4, s6, v59
	;; [unrolled: 1-line block ×4, first 2 shown]
	v_sub_f16_e32 v54, v9, v10
	v_sub_f16_e32 v59, v56, v58
	v_sub_f16_e32 v90, v60, v63
	v_fma_f16 v52, v54, s4, v52
	v_add_f16_e32 v59, v59, v90
	v_fma_f16 v90, v59, s6, v52
	v_fma_f16 v7, v51, s7, v7
	v_add_f16_e32 v52, v56, v60
	v_fma_f16 v7, v54, s14, v7
	v_fma_f16 v52, v52, -0.5, v61
	v_lshrrev_b32_e32 v106, 16, v61
	v_fma_f16 v4, v4, s6, v6
	v_add_f16_e32 v6, v61, v56
	v_fma_f16 v7, v59, s6, v7
	v_fma_f16 v59, v54, s7, v52
	v_sub_f16_e32 v61, v58, v56
	v_sub_f16_e32 v98, v63, v60
	v_fma_f16 v52, v54, s5, v52
	v_fma_f16 v59, v51, s4, v59
	v_add_f16_e32 v61, v61, v98
	v_fma_f16 v51, v51, s14, v52
	v_fma_f16 v54, v61, s6, v51
	v_add_f16_e32 v51, v106, v8
	v_add_f16_e32 v51, v51, v9
	;; [unrolled: 1-line block ×4, first 2 shown]
	v_fma_f16 v59, v61, s6, v59
	v_add_f16_e32 v61, v51, v11
	v_add_f16_e32 v51, v9, v10
	;; [unrolled: 1-line block ×3, first 2 shown]
	v_fma_f16 v51, v51, -0.5, v106
	v_sub_f16_e32 v52, v56, v60
	v_add_f16_e32 v6, v6, v60
	v_fma_f16 v56, v52, s7, v51
	v_sub_f16_e32 v58, v58, v63
	v_sub_f16_e32 v60, v8, v9
	;; [unrolled: 1-line block ×3, first 2 shown]
	v_fma_f16 v51, v52, s5, v51
	v_fma_f16 v56, v58, s14, v56
	v_add_f16_e32 v60, v60, v63
	v_fma_f16 v51, v58, s4, v51
	v_fma_f16 v56, v60, s6, v56
	;; [unrolled: 1-line block ×3, first 2 shown]
	v_add_f16_e32 v51, v8, v11
	v_fma_f16 v51, v51, -0.5, v106
	v_fma_f16 v63, v58, s5, v51
	v_sub_f16_e32 v8, v9, v8
	v_sub_f16_e32 v9, v10, v11
	v_add_f16_e32 v11, v85, v64
	v_fma_f16 v63, v52, s14, v63
	v_add_f16_e32 v8, v8, v9
	v_fma_f16 v10, v58, s7, v51
	v_fma_f16 v11, v11, -0.5, v62
	v_sub_f16_e32 v51, v12, v15
	v_fma_f16 v9, v8, s6, v63
	v_fma_f16 v10, v52, s4, v10
	;; [unrolled: 1-line block ×3, first 2 shown]
	v_sub_f16_e32 v58, v13, v14
	v_sub_f16_e32 v63, v83, v85
	;; [unrolled: 1-line block ×3, first 2 shown]
	v_fma_f16 v52, v58, s4, v52
	v_add_f16_e32 v63, v63, v98
	v_fma_f16 v98, v63, s6, v52
	v_fma_f16 v11, v51, s7, v11
	v_add_f16_e32 v52, v83, v87
	v_fma_f16 v11, v58, s14, v11
	v_fma_f16 v52, v52, -0.5, v62
	v_lshrrev_b32_e32 v136, 16, v62
	v_fma_f16 v8, v8, s6, v10
	v_add_f16_e32 v10, v62, v83
	v_fma_f16 v11, v63, s6, v11
	v_fma_f16 v62, v58, s7, v52
	v_sub_f16_e32 v63, v85, v83
	v_sub_f16_e32 v106, v64, v87
	v_fma_f16 v52, v58, s5, v52
	v_fma_f16 v62, v51, s4, v62
	v_add_f16_e32 v63, v63, v106
	v_fma_f16 v51, v51, s14, v52
	v_fma_f16 v58, v63, s6, v51
	v_add_f16_e32 v51, v136, v12
	v_add_f16_e32 v51, v51, v13
	;; [unrolled: 1-line block ×4, first 2 shown]
	v_fma_f16 v62, v63, s6, v62
	v_add_f16_e32 v63, v51, v15
	v_add_f16_e32 v51, v13, v14
	v_add_f16_e32 v10, v10, v64
	v_fma_f16 v51, v51, -0.5, v136
	v_sub_f16_e32 v52, v83, v87
	v_add_f16_e32 v10, v10, v87
	v_fma_f16 v83, v52, s7, v51
	v_sub_f16_e32 v64, v85, v64
	v_sub_f16_e32 v85, v12, v13
	;; [unrolled: 1-line block ×3, first 2 shown]
	v_fma_f16 v51, v52, s5, v51
	v_fma_f16 v83, v64, s14, v83
	v_add_f16_e32 v85, v85, v87
	v_fma_f16 v51, v64, s4, v51
	v_fma_f16 v83, v85, s6, v83
	;; [unrolled: 1-line block ×3, first 2 shown]
	v_add_f16_e32 v51, v12, v15
	v_fma_f16 v51, v51, -0.5, v136
	v_fma_f16 v87, v64, s5, v51
	v_sub_f16_e32 v12, v13, v12
	v_sub_f16_e32 v13, v14, v15
	v_fma_f16 v14, v64, s7, v51
	v_add_f16_e32 v15, v86, v53
	v_fma_f16 v87, v52, s14, v87
	v_add_f16_e32 v12, v12, v13
	v_fma_f16 v14, v52, s4, v14
	v_fma_f16 v15, v15, -0.5, v45
	v_sub_f16_e32 v52, v16, v19
	v_fma_f16 v13, v12, s6, v87
	v_fma_f16 v51, v52, s5, v15
	v_sub_f16_e32 v64, v17, v18
	v_sub_f16_e32 v87, v84, v86
	;; [unrolled: 1-line block ×3, first 2 shown]
	v_fma_f16 v15, v52, s7, v15
	v_fma_f16 v51, v64, s4, v51
	v_add_f16_e32 v87, v87, v106
	v_fma_f16 v15, v64, s14, v15
	v_fma_f16 v106, v87, s6, v51
	v_fma_f16 v51, v87, s6, v15
	v_add_f16_e32 v15, v84, v88
	v_fma_f16 v15, v15, -0.5, v45
	v_lshrrev_b32_e32 v142, 16, v45
	v_fma_f16 v12, v12, s6, v14
	v_add_f16_e32 v14, v45, v84
	v_fma_f16 v45, v64, s7, v15
	v_fma_f16 v15, v64, s5, v15
	;; [unrolled: 1-line block ×4, first 2 shown]
	v_add_f16_e32 v52, v142, v16
	v_add_f16_e32 v52, v52, v17
	;; [unrolled: 1-line block ×3, first 2 shown]
	v_sub_f16_e32 v87, v86, v84
	v_sub_f16_e32 v108, v53, v88
	v_add_f16_e32 v64, v52, v19
	v_add_f16_e32 v52, v17, v18
	;; [unrolled: 1-line block ×4, first 2 shown]
	v_fma_f16 v52, v52, -0.5, v142
	v_sub_f16_e32 v84, v84, v88
	v_add_f16_e32 v14, v14, v53
	v_fma_f16 v45, v87, s6, v45
	v_fma_f16 v15, v87, s6, v15
	;; [unrolled: 1-line block ×3, first 2 shown]
	v_sub_f16_e32 v53, v86, v53
	v_add_f16_e32 v14, v14, v88
	v_fma_f16 v86, v53, s14, v87
	v_sub_f16_e32 v87, v16, v17
	v_sub_f16_e32 v88, v19, v18
	v_fma_f16 v52, v84, s5, v52
	v_add_f16_e32 v87, v87, v88
	v_fma_f16 v52, v53, s4, v52
	v_fma_f16 v86, v87, s6, v86
	v_fma_f16 v52, v87, s6, v52
	v_add_f16_e32 v87, v16, v19
	v_fma_f16 v87, v87, -0.5, v142
	v_fma_f16 v88, v53, s5, v87
	v_sub_f16_e32 v16, v17, v16
	v_sub_f16_e32 v17, v18, v19
	v_fma_f16 v18, v53, s7, v87
	v_pack_b32_f16 v1, v100, v1
	v_pack_b32_f16 v0, v43, v0
	v_fma_f16 v88, v84, s14, v88
	v_add_f16_e32 v16, v16, v17
	v_fma_f16 v18, v84, s4, v18
	s_barrier
	ds_write2_b32 v147, v1, v0 offset0:60 offset1:90
	v_pack_b32_f16 v0, v95, v99
	v_fma_f16 v17, v16, s6, v88
	v_fma_f16 v16, v16, s6, v18
	v_pack_b32_f16 v18, v91, v96
	v_pack_b32_f16 v19, v97, v105
	ds_write_b32 v147, v0 offset:480
	v_pack_b32_f16 v0, v2, v46
	v_pack_b32_f16 v1, v104, v55
	ds_write2_b32 v147, v18, v19 offset1:30
	ds_write2_b32 v148, v0, v1 offset1:30
	v_pack_b32_f16 v0, v107, v5
	v_pack_b32_f16 v1, v44, v4
	ds_write2_b32 v148, v0, v1 offset0:60 offset1:90
	v_pack_b32_f16 v0, v3, v57
	ds_write_b32 v148, v0 offset:480
	v_pack_b32_f16 v0, v6, v61
	v_pack_b32_f16 v1, v90, v56
	ds_write2_b32 v149, v0, v1 offset1:30
	v_pack_b32_f16 v0, v59, v9
	v_pack_b32_f16 v1, v54, v8
	ds_write2_b32 v149, v0, v1 offset0:60 offset1:90
	v_pack_b32_f16 v0, v7, v60
	ds_write_b32 v149, v0 offset:480
	v_pack_b32_f16 v0, v10, v63
	v_pack_b32_f16 v1, v98, v83
	;; [unrolled: 8-line block ×3, first 2 shown]
	ds_write2_b32 v151, v0, v1 offset1:30
	v_pack_b32_f16 v0, v45, v17
	v_pack_b32_f16 v1, v15, v16
	ds_write2_b32 v151, v0, v1 offset0:60 offset1:90
	v_pack_b32_f16 v0, v51, v52
	ds_write_b32 v151, v0 offset:480
	v_add_u32_e32 v0, 0x1600, v109
	s_waitcnt lgkmcnt(0)
	s_barrier
	ds_read2_b32 v[6:7], v109 offset1:90
	ds_read2_b32 v[43:44], v133 offset0:110 offset1:200
	ds_read2_b32 v[45:46], v0 offset0:92 offset1:182
	;; [unrolled: 1-line block ×11, first 2 shown]
	s_and_saveexec_b64 s[4:5], s[2:3]
	s_cbranch_execz .LBB0_27
; %bb.26:
	ds_read_b32 v51, v109 offset:2880
	ds_read_b32 v47, v109 offset:5880
	;; [unrolled: 1-line block ×3, first 2 shown]
	s_waitcnt lgkmcnt(2)
	v_lshrrev_b32_e32 v52, 16, v51
	s_waitcnt lgkmcnt(1)
	v_lshrrev_b32_e32 v49, 16, v47
	;; [unrolled: 2-line block ×3, first 2 shown]
.LBB0_27:
	s_or_b64 exec, exec, s[4:5]
	s_waitcnt lgkmcnt(10)
	v_lshrrev_b32_e32 v54, 16, v43
	v_mul_f16_sdwa v95, v67, v54 dst_sel:DWORD dst_unused:UNUSED_PAD src0_sel:WORD_1 src1_sel:DWORD
	s_waitcnt lgkmcnt(9)
	v_lshrrev_b32_e32 v55, 16, v45
	v_fma_f16 v95, v67, v43, v95
	v_mul_f16_sdwa v43, v67, v43 dst_sel:DWORD dst_unused:UNUSED_PAD src0_sel:WORD_1 src1_sel:DWORD
	v_fma_f16 v43, v67, v54, -v43
	v_mul_f16_sdwa v54, v68, v55 dst_sel:DWORD dst_unused:UNUSED_PAD src0_sel:WORD_1 src1_sel:DWORD
	v_lshrrev_b32_e32 v57, 16, v44
	v_fma_f16 v54, v68, v45, v54
	v_mul_f16_sdwa v45, v68, v45 dst_sel:DWORD dst_unused:UNUSED_PAD src0_sel:WORD_1 src1_sel:DWORD
	v_fma_f16 v45, v68, v55, -v45
	v_mul_f16_sdwa v55, v73, v57 dst_sel:DWORD dst_unused:UNUSED_PAD src0_sel:WORD_1 src1_sel:DWORD
	;; [unrolled: 5-line block ×3, first 2 shown]
	s_waitcnt lgkmcnt(7)
	v_lshrrev_b32_e32 v60, 16, v18
	v_fma_f16 v57, v74, v46, v57
	v_mul_f16_sdwa v46, v74, v46 dst_sel:DWORD dst_unused:UNUSED_PAD src0_sel:WORD_1 src1_sel:DWORD
	v_fma_f16 v46, v74, v58, -v46
	v_mul_f16_sdwa v58, v71, v60 dst_sel:DWORD dst_unused:UNUSED_PAD src0_sel:WORD_1 src1_sel:DWORD
	s_waitcnt lgkmcnt(6)
	v_lshrrev_b32_e32 v61, 16, v16
	v_fma_f16 v58, v71, v18, v58
	v_mul_f16_sdwa v18, v71, v18 dst_sel:DWORD dst_unused:UNUSED_PAD src0_sel:WORD_1 src1_sel:DWORD
	v_fma_f16 v18, v71, v60, -v18
	v_mul_f16_sdwa v60, v72, v61 dst_sel:DWORD dst_unused:UNUSED_PAD src0_sel:WORD_1 src1_sel:DWORD
	v_lshrrev_b32_e32 v63, 16, v19
	s_waitcnt lgkmcnt(4)
	v_lshrrev_b32_e32 v87, 16, v15
	v_fma_f16 v60, v72, v16, v60
	v_mul_f16_sdwa v16, v72, v16 dst_sel:DWORD dst_unused:UNUSED_PAD src0_sel:WORD_1 src1_sel:DWORD
	v_fma_f16 v16, v72, v61, -v16
	v_mul_f16_sdwa v61, v69, v63 dst_sel:DWORD dst_unused:UNUSED_PAD src0_sel:WORD_1 src1_sel:DWORD
	v_mul_f16_sdwa v68, v75, v87 dst_sel:DWORD dst_unused:UNUSED_PAD src0_sel:WORD_1 src1_sel:DWORD
	s_waitcnt lgkmcnt(3)
	v_lshrrev_b32_e32 v88, 16, v13
	v_fma_f16 v61, v69, v19, v61
	v_mul_f16_sdwa v19, v69, v19 dst_sel:DWORD dst_unused:UNUSED_PAD src0_sel:WORD_1 src1_sel:DWORD
	v_fma_f16 v68, v75, v15, v68
	v_mul_f16_sdwa v15, v75, v15 dst_sel:DWORD dst_unused:UNUSED_PAD src0_sel:WORD_1 src1_sel:DWORD
	v_lshrrev_b32_e32 v64, 16, v17
	v_fma_f16 v19, v69, v63, -v19
	v_fma_f16 v15, v75, v87, -v15
	v_mul_f16_sdwa v69, v76, v88 dst_sel:DWORD dst_unused:UNUSED_PAD src0_sel:WORD_1 src1_sel:DWORD
	v_add_f16_e32 v75, v95, v54
	v_lshrrev_b32_e32 v53, 16, v6
	v_mul_f16_sdwa v63, v70, v64 dst_sel:DWORD dst_unused:UNUSED_PAD src0_sel:WORD_1 src1_sel:DWORD
	v_fma_f16 v69, v76, v13, v69
	v_mul_f16_sdwa v13, v76, v13 dst_sel:DWORD dst_unused:UNUSED_PAD src0_sel:WORD_1 src1_sel:DWORD
	v_add_f16_e32 v74, v6, v95
	v_fma_f16 v6, v75, -0.5, v6
	v_sub_f16_e32 v75, v43, v45
	s_mov_b32 s6, 0xbaee
	s_movk_i32 s7, 0x3aee
	v_lshrrev_b32_e32 v84, 16, v14
	v_fma_f16 v63, v70, v17, v63
	v_mul_f16_sdwa v17, v70, v17 dst_sel:DWORD dst_unused:UNUSED_PAD src0_sel:WORD_1 src1_sel:DWORD
	v_fma_f16 v13, v76, v88, -v13
	v_fma_f16 v76, v75, s6, v6
	v_fma_f16 v6, v75, s7, v6
	v_add_f16_e32 v75, v53, v43
	v_add_f16_e32 v43, v43, v45
	v_fma_f16 v17, v70, v64, -v17
	v_mul_f16_sdwa v64, v77, v84 dst_sel:DWORD dst_unused:UNUSED_PAD src0_sel:WORD_1 src1_sel:DWORD
	v_add_f16_e32 v74, v74, v54
	v_add_f16_e32 v75, v75, v45
	v_fma_f16 v43, v43, -0.5, v53
	v_sub_f16_e32 v45, v95, v54
	v_add_f16_e32 v54, v55, v57
	v_lshrrev_b32_e32 v56, 16, v7
	v_fma_f16 v64, v77, v14, v64
	v_mul_f16_sdwa v14, v77, v14 dst_sel:DWORD dst_unused:UNUSED_PAD src0_sel:WORD_1 src1_sel:DWORD
	v_fma_f16 v53, v45, s7, v43
	v_fma_f16 v43, v45, s6, v43
	v_add_f16_e32 v45, v7, v55
	v_fma_f16 v7, v54, -0.5, v7
	v_sub_f16_e32 v54, v44, v46
	v_fma_f16 v14, v77, v84, -v14
	v_fma_f16 v77, v54, s6, v7
	v_fma_f16 v7, v54, s7, v7
	v_add_f16_e32 v54, v56, v44
	v_add_f16_e32 v44, v44, v46
	;; [unrolled: 1-line block ×3, first 2 shown]
	v_fma_f16 v44, v44, -0.5, v56
	v_sub_f16_e32 v46, v55, v57
	v_add_f16_e32 v56, v58, v60
	v_lshrrev_b32_e32 v59, 16, v4
	v_fma_f16 v55, v46, s7, v44
	v_fma_f16 v44, v46, s6, v44
	v_add_f16_e32 v46, v4, v58
	v_fma_f16 v4, v56, -0.5, v4
	v_sub_f16_e32 v56, v18, v16
	v_add_f16_e32 v45, v45, v57
	v_fma_f16 v57, v56, s6, v4
	v_fma_f16 v56, v56, s7, v4
	v_add_f16_e32 v4, v59, v18
	v_add_f16_e32 v4, v4, v16
	v_add_f16_e32 v16, v18, v16
	v_fma_f16 v16, v16, -0.5, v59
	v_sub_f16_e32 v18, v58, v60
	v_add_f16_e32 v59, v61, v63
	v_lshrrev_b32_e32 v62, 16, v5
	v_lshrrev_b32_e32 v85, 16, v12
	v_fma_f16 v58, v18, s7, v16
	v_fma_f16 v16, v18, s6, v16
	v_add_f16_e32 v18, v5, v61
	v_fma_f16 v5, v59, -0.5, v5
	v_sub_f16_e32 v59, v19, v17
	v_mul_f16_sdwa v67, v78, v85 dst_sel:DWORD dst_unused:UNUSED_PAD src0_sel:WORD_1 src1_sel:DWORD
	v_add_f16_e32 v46, v46, v60
	v_fma_f16 v60, v59, s6, v5
	v_fma_f16 v5, v59, s7, v5
	v_add_f16_e32 v59, v62, v19
	v_fma_f16 v67, v78, v12, v67
	v_mul_f16_sdwa v12, v78, v12 dst_sel:DWORD dst_unused:UNUSED_PAD src0_sel:WORD_1 src1_sel:DWORD
	v_add_f16_e32 v59, v59, v17
	v_add_f16_e32 v17, v19, v17
	v_fma_f16 v12, v78, v85, -v12
	v_fma_f16 v17, v17, -0.5, v62
	v_sub_f16_e32 v19, v61, v63
	v_add_f16_e32 v62, v64, v67
	v_lshrrev_b32_e32 v83, 16, v2
	v_fma_f16 v61, v19, s7, v17
	v_fma_f16 v17, v19, s6, v17
	v_add_f16_e32 v19, v2, v64
	v_fma_f16 v2, v62, -0.5, v2
	v_sub_f16_e32 v62, v14, v12
	v_add_f16_e32 v18, v18, v63
	v_fma_f16 v63, v62, s6, v2
	v_fma_f16 v2, v62, s7, v2
	v_add_f16_e32 v62, v83, v14
	v_add_f16_e32 v62, v62, v12
	;; [unrolled: 1-line block ×4, first 2 shown]
	v_fma_f16 v12, v12, -0.5, v83
	v_sub_f16_e32 v14, v64, v67
	v_add_f16_e32 v67, v68, v69
	v_lshrrev_b32_e32 v86, 16, v3
	s_waitcnt lgkmcnt(1)
	v_lshrrev_b32_e32 v90, 16, v10
	s_waitcnt lgkmcnt(0)
	v_lshrrev_b32_e32 v91, 16, v8
	v_fma_f16 v64, v14, s7, v12
	v_fma_f16 v12, v14, s6, v12
	v_add_f16_e32 v14, v3, v68
	v_fma_f16 v3, v67, -0.5, v3
	v_sub_f16_e32 v67, v15, v13
	v_mul_f16_sdwa v70, v79, v90 dst_sel:DWORD dst_unused:UNUSED_PAD src0_sel:WORD_1 src1_sel:DWORD
	v_mul_f16_sdwa v71, v80, v91 dst_sel:DWORD dst_unused:UNUSED_PAD src0_sel:WORD_1 src1_sel:DWORD
	v_fma_f16 v78, v67, s6, v3
	v_fma_f16 v3, v67, s7, v3
	v_add_f16_e32 v67, v86, v15
	v_fma_f16 v70, v79, v10, v70
	v_mul_f16_sdwa v10, v79, v10 dst_sel:DWORD dst_unused:UNUSED_PAD src0_sel:WORD_1 src1_sel:DWORD
	v_fma_f16 v71, v80, v8, v71
	v_mul_f16_sdwa v8, v80, v8 dst_sel:DWORD dst_unused:UNUSED_PAD src0_sel:WORD_1 src1_sel:DWORD
	v_add_f16_e32 v67, v67, v13
	v_add_f16_e32 v13, v15, v13
	v_fma_f16 v10, v79, v90, -v10
	v_fma_f16 v8, v80, v91, -v8
	v_add_f16_e32 v14, v14, v69
	v_fma_f16 v13, v13, -0.5, v86
	v_sub_f16_e32 v15, v68, v69
	v_add_f16_e32 v69, v70, v71
	v_lshrrev_b32_e32 v89, 16, v0
	v_lshrrev_b32_e32 v93, 16, v11
	;; [unrolled: 1-line block ×3, first 2 shown]
	v_fma_f16 v68, v15, s7, v13
	v_fma_f16 v13, v15, s6, v13
	v_add_f16_e32 v15, v0, v70
	v_fma_f16 v0, v69, -0.5, v0
	v_sub_f16_e32 v69, v10, v8
	v_mul_f16_sdwa v72, v81, v93 dst_sel:DWORD dst_unused:UNUSED_PAD src0_sel:WORD_1 src1_sel:DWORD
	v_mul_f16_sdwa v73, v82, v94 dst_sel:DWORD dst_unused:UNUSED_PAD src0_sel:WORD_1 src1_sel:DWORD
	v_fma_f16 v79, v69, s6, v0
	v_fma_f16 v0, v69, s7, v0
	v_add_f16_e32 v69, v89, v10
	v_fma_f16 v72, v81, v11, v72
	v_mul_f16_sdwa v11, v81, v11 dst_sel:DWORD dst_unused:UNUSED_PAD src0_sel:WORD_1 src1_sel:DWORD
	v_fma_f16 v73, v82, v9, v73
	v_mul_f16_sdwa v9, v82, v9 dst_sel:DWORD dst_unused:UNUSED_PAD src0_sel:WORD_1 src1_sel:DWORD
	v_add_f16_e32 v69, v69, v8
	v_add_f16_e32 v8, v10, v8
	v_fma_f16 v11, v81, v93, -v11
	v_fma_f16 v9, v82, v94, -v9
	v_add_f16_e32 v15, v15, v71
	v_fma_f16 v8, v8, -0.5, v89
	v_sub_f16_e32 v10, v70, v71
	v_add_f16_e32 v71, v72, v73
	v_lshrrev_b32_e32 v92, 16, v1
	v_fma_f16 v70, v10, s7, v8
	v_fma_f16 v8, v10, s6, v8
	v_add_f16_e32 v10, v1, v72
	v_fma_f16 v1, v71, -0.5, v1
	v_sub_f16_e32 v71, v11, v9
	v_fma_f16 v80, v71, s6, v1
	v_fma_f16 v1, v71, s7, v1
	v_add_f16_e32 v71, v92, v11
	v_add_f16_e32 v71, v71, v9
	;; [unrolled: 1-line block ×3, first 2 shown]
	v_fma_f16 v9, v9, -0.5, v92
	v_sub_f16_e32 v11, v72, v73
	v_fma_f16 v72, v11, s7, v9
	v_fma_f16 v9, v11, s6, v9
	v_pack_b32_f16 v11, v74, v75
	v_pack_b32_f16 v53, v76, v53
	;; [unrolled: 1-line block ×3, first 2 shown]
	s_barrier
	ds_write2_b32 v109, v11, v53 offset1:150
	ds_write_b32 v109, v6 offset:1200
	v_pack_b32_f16 v6, v45, v54
	v_pack_b32_f16 v11, v77, v55
	ds_write2_b32 v153, v6, v11 offset1:150
	v_pack_b32_f16 v6, v7, v44
	ds_write_b32 v153, v6 offset:1200
	v_pack_b32_f16 v6, v46, v4
	v_pack_b32_f16 v7, v57, v58
	v_add_u32_e32 v4, 0x600, v109
	ds_write2_b32 v4, v6, v7 offset0:96 offset1:246
	v_pack_b32_f16 v6, v56, v16
	ds_write_b32 v109, v6 offset:3120
	v_pack_b32_f16 v6, v18, v59
	v_pack_b32_f16 v7, v60, v61
	;; [unrolled: 1-line block ×3, first 2 shown]
	ds_write2_b32 v154, v6, v7 offset1:150
	ds_write_b32 v154, v5 offset:1200
	v_pack_b32_f16 v5, v19, v62
	v_pack_b32_f16 v6, v63, v64
	v_add_u32_e32 v7, 0xe00, v155
	v_pack_b32_f16 v2, v2, v12
	ds_write2_b32 v7, v5, v6 offset0:4 offset1:154
	ds_write_b32 v155, v2 offset:4800
	v_pack_b32_f16 v2, v14, v67
	v_pack_b32_f16 v5, v78, v68
	v_add_u32_e32 v6, 0x1400, v156
	ds_write2_b32 v6, v2, v5 offset0:70 offset1:220
	v_pack_b32_f16 v2, v3, v13
	v_add_f16_e32 v10, v10, v73
	ds_write_b32 v156, v2 offset:6600
	v_pack_b32_f16 v2, v15, v69
	v_pack_b32_f16 v3, v79, v70
	;; [unrolled: 1-line block ×3, first 2 shown]
	ds_write2_b32 v157, v2, v3 offset1:150
	ds_write_b32 v157, v0 offset:1200
	v_pack_b32_f16 v0, v10, v71
	v_pack_b32_f16 v2, v80, v72
	v_add_u32_e32 v3, 0x1c00, v158
	ds_write2_b32 v3, v0, v2 offset0:8 offset1:158
	v_pack_b32_f16 v0, v1, v9
	ds_write_b32 v158, v0 offset:8400
	s_and_saveexec_b64 s[4:5], s[2:3]
	s_cbranch_execz .LBB0_29
; %bb.28:
	v_mul_f16_sdwa v0, v65, v47 dst_sel:DWORD dst_unused:UNUSED_PAD src0_sel:WORD_1 src1_sel:DWORD
	v_mul_f16_sdwa v1, v66, v48 dst_sel:DWORD dst_unused:UNUSED_PAD src0_sel:WORD_1 src1_sel:DWORD
	v_fma_f16 v0, v65, v49, -v0
	v_fma_f16 v1, v66, v50, -v1
	v_mul_f16_sdwa v3, v65, v49 dst_sel:DWORD dst_unused:UNUSED_PAD src0_sel:WORD_1 src1_sel:DWORD
	v_mul_f16_sdwa v5, v66, v50 dst_sel:DWORD dst_unused:UNUSED_PAD src0_sel:WORD_1 src1_sel:DWORD
	v_add_f16_e32 v2, v0, v1
	v_fma_f16 v3, v65, v47, v3
	v_fma_f16 v5, v66, v48, v5
	v_fma_f16 v2, v2, -0.5, v52
	v_sub_f16_e32 v6, v3, v5
	v_add_f16_e32 v8, v3, v5
	v_fma_f16 v7, v6, s6, v2
	v_fma_f16 v2, v6, s7, v2
	v_add_f16_e32 v6, v52, v0
	v_fma_f16 v8, v8, -0.5, v51
	v_sub_f16_e32 v0, v0, v1
	v_add_f16_e32 v3, v51, v3
	v_add_f16_e32 v6, v6, v1
	v_fma_f16 v1, v0, s7, v8
	v_fma_f16 v0, v0, s6, v8
	v_add_f16_e32 v3, v3, v5
	v_pack_b32_f16 v3, v3, v6
	v_pack_b32_f16 v0, v0, v2
	v_add_u32_e32 v2, 0x1c00, v152
	ds_write2_b32 v2, v3, v0 offset0:8 offset1:158
	v_pack_b32_f16 v0, v1, v7
	ds_write_b32 v152, v0 offset:8400
.LBB0_29:
	s_or_b64 exec, exec, s[4:5]
	v_add_u32_e32 v2, 0x400, v109
	s_waitcnt lgkmcnt(0)
	s_barrier
	ds_read2_b32 v[43:44], v2 offset0:104 offset1:194
	v_add_u32_e32 v8, 0xc00, v109
	ds_read2_b32 v[45:46], v8 offset0:132 offset1:222
	v_add_u32_e32 v2, 0x1200, v109
	;; [unrolled: 2-line block ×4, first 2 shown]
	s_waitcnt lgkmcnt(3)
	v_lshrrev_b32_e32 v5, 16, v44
	ds_read2_b32 v[51:52], v6 offset0:28 offset1:118
	v_add_u32_e32 v12, 0x1400, v109
	v_mul_f16_sdwa v83, v20, v5 dst_sel:DWORD dst_unused:UNUSED_PAD src0_sel:WORD_1 src1_sel:DWORD
	s_waitcnt lgkmcnt(3)
	v_lshrrev_b32_e32 v7, 16, v45
	ds_read2_b32 v[53:54], v12 offset0:160 offset1:250
	v_fma_f16 v83, v20, v44, v83
	v_mul_f16_sdwa v44, v20, v44 dst_sel:DWORD dst_unused:UNUSED_PAD src0_sel:WORD_1 src1_sel:DWORD
	s_waitcnt lgkmcnt(3)
	v_lshrrev_b32_e32 v9, 16, v48
	v_fma_f16 v5, v20, v5, -v44
	v_mul_f16_sdwa v20, v21, v7 dst_sel:DWORD dst_unused:UNUSED_PAD src0_sel:WORD_1 src1_sel:DWORD
	v_mul_f16_sdwa v44, v21, v45 dst_sel:DWORD dst_unused:UNUSED_PAD src0_sel:WORD_1 src1_sel:DWORD
	s_waitcnt lgkmcnt(2)
	v_lshrrev_b32_e32 v11, 16, v49
	v_add_u32_e32 v10, 0x1000, v109
	v_fma_f16 v20, v21, v45, v20
	v_fma_f16 v7, v21, v7, -v44
	v_mul_f16_sdwa v21, v22, v9 dst_sel:DWORD dst_unused:UNUSED_PAD src0_sel:WORD_1 src1_sel:DWORD
	v_mul_f16_sdwa v44, v22, v48 dst_sel:DWORD dst_unused:UNUSED_PAD src0_sel:WORD_1 src1_sel:DWORD
	s_waitcnt lgkmcnt(1)
	v_lshrrev_b32_e32 v15, 16, v51
	ds_read2_b32 v[57:58], v10 offset0:56 offset1:146
	v_fma_f16 v21, v22, v48, v21
	v_fma_f16 v9, v22, v9, -v44
	v_mul_f16_sdwa v22, v23, v11 dst_sel:DWORD dst_unused:UNUSED_PAD src0_sel:WORD_1 src1_sel:DWORD
	v_mul_f16_sdwa v44, v23, v49 dst_sel:DWORD dst_unused:UNUSED_PAD src0_sel:WORD_1 src1_sel:DWORD
	v_lshrrev_b32_e32 v17, 16, v46
	v_add_u32_e32 v18, 0x1e00, v109
	v_fma_f16 v22, v23, v49, v22
	v_fma_f16 v11, v23, v11, -v44
	v_mul_f16_sdwa v23, v24, v15 dst_sel:DWORD dst_unused:UNUSED_PAD src0_sel:WORD_1 src1_sel:DWORD
	v_mul_f16_sdwa v44, v24, v51 dst_sel:DWORD dst_unused:UNUSED_PAD src0_sel:WORD_1 src1_sel:DWORD
	s_waitcnt lgkmcnt(1)
	v_lshrrev_b32_e32 v19, 16, v53
	ds_read2_b32 v[59:60], v18 offset0:60 offset1:150
	v_add_u32_e32 v70, 0xa00, v109
	v_fma_f16 v23, v24, v51, v23
	v_fma_f16 v15, v24, v15, -v44
	v_mul_f16_sdwa v24, v25, v17 dst_sel:DWORD dst_unused:UNUSED_PAD src0_sel:WORD_1 src1_sel:DWORD
	v_mul_f16_sdwa v44, v25, v46 dst_sel:DWORD dst_unused:UNUSED_PAD src0_sel:WORD_1 src1_sel:DWORD
	v_lshrrev_b32_e32 v65, 16, v50
	ds_read2_b32 v[61:62], v70 offset0:80 offset1:170
	v_fma_f16 v24, v25, v46, v24
	v_fma_f16 v17, v25, v17, -v44
	v_mul_f16_sdwa v25, v26, v19 dst_sel:DWORD dst_unused:UNUSED_PAD src0_sel:WORD_1 src1_sel:DWORD
	v_mul_f16_sdwa v44, v26, v53 dst_sel:DWORD dst_unused:UNUSED_PAD src0_sel:WORD_1 src1_sel:DWORD
	v_lshrrev_b32_e32 v67, 16, v52
	v_add_u32_e32 v14, 0x1800, v109
	v_fma_f16 v25, v26, v53, v25
	v_fma_f16 v19, v26, v19, -v44
	v_mul_f16_sdwa v26, v27, v65 dst_sel:DWORD dst_unused:UNUSED_PAD src0_sel:WORD_1 src1_sel:DWORD
	v_mul_f16_sdwa v44, v27, v50 dst_sel:DWORD dst_unused:UNUSED_PAD src0_sel:WORD_1 src1_sel:DWORD
	s_waitcnt lgkmcnt(2)
	v_lshrrev_b32_e32 v68, 16, v57
	ds_read2_b32 v[63:64], v14 offset0:84 offset1:174
	v_fma_f16 v26, v27, v50, v26
	v_fma_f16 v27, v27, v65, -v44
	v_mul_f16_sdwa v44, v36, v67 dst_sel:DWORD dst_unused:UNUSED_PAD src0_sel:WORD_1 src1_sel:DWORD
	v_mul_f16_sdwa v45, v36, v52 dst_sel:DWORD dst_unused:UNUSED_PAD src0_sel:WORD_1 src1_sel:DWORD
	v_lshrrev_b32_e32 v69, 16, v54
	v_fma_f16 v44, v36, v52, v44
	v_fma_f16 v36, v36, v67, -v45
	v_mul_f16_sdwa v45, v37, v68 dst_sel:DWORD dst_unused:UNUSED_PAD src0_sel:WORD_1 src1_sel:DWORD
	v_mul_f16_sdwa v46, v37, v57 dst_sel:DWORD dst_unused:UNUSED_PAD src0_sel:WORD_1 src1_sel:DWORD
	s_waitcnt lgkmcnt(2)
	v_lshrrev_b32_e32 v71, 16, v59
	v_fma_f16 v45, v37, v57, v45
	v_fma_f16 v37, v37, v68, -v46
	v_mul_f16_sdwa v46, v38, v69 dst_sel:DWORD dst_unused:UNUSED_PAD src0_sel:WORD_1 src1_sel:DWORD
	v_mul_f16_sdwa v48, v38, v54 dst_sel:DWORD dst_unused:UNUSED_PAD src0_sel:WORD_1 src1_sel:DWORD
	s_waitcnt lgkmcnt(1)
	v_lshrrev_b32_e32 v73, 16, v61
	v_fma_f16 v46, v38, v54, v46
	v_fma_f16 v38, v38, v69, -v48
	v_mul_f16_sdwa v48, v39, v71 dst_sel:DWORD dst_unused:UNUSED_PAD src0_sel:WORD_1 src1_sel:DWORD
	v_mul_f16_sdwa v49, v39, v59 dst_sel:DWORD dst_unused:UNUSED_PAD src0_sel:WORD_1 src1_sel:DWORD
	v_lshrrev_b32_e32 v74, 16, v58
	v_fma_f16 v48, v39, v59, v48
	v_fma_f16 v39, v39, v71, -v49
	v_mul_f16_sdwa v49, v32, v73 dst_sel:DWORD dst_unused:UNUSED_PAD src0_sel:WORD_1 src1_sel:DWORD
	v_mul_f16_sdwa v50, v32, v61 dst_sel:DWORD dst_unused:UNUSED_PAD src0_sel:WORD_1 src1_sel:DWORD
	s_waitcnt lgkmcnt(0)
	v_lshrrev_b32_e32 v75, 16, v63
	v_fma_f16 v49, v32, v61, v49
	v_fma_f16 v32, v32, v73, -v50
	v_mul_f16_sdwa v50, v33, v74 dst_sel:DWORD dst_unused:UNUSED_PAD src0_sel:WORD_1 src1_sel:DWORD
	v_mul_f16_sdwa v51, v33, v58 dst_sel:DWORD dst_unused:UNUSED_PAD src0_sel:WORD_1 src1_sel:DWORD
	ds_read2_b32 v[0:1], v109 offset1:90
	v_lshrrev_b32_e32 v76, 16, v60
	v_fma_f16 v50, v33, v58, v50
	v_fma_f16 v33, v33, v74, -v51
	v_mul_f16_sdwa v51, v34, v75 dst_sel:DWORD dst_unused:UNUSED_PAD src0_sel:WORD_1 src1_sel:DWORD
	v_mul_f16_sdwa v52, v34, v63 dst_sel:DWORD dst_unused:UNUSED_PAD src0_sel:WORD_1 src1_sel:DWORD
	ds_read_b32 v77, v109 offset:8640
	v_lshrrev_b32_e32 v79, 16, v62
	v_fma_f16 v51, v34, v63, v51
	v_fma_f16 v34, v34, v75, -v52
	v_mul_f16_sdwa v52, v35, v76 dst_sel:DWORD dst_unused:UNUSED_PAD src0_sel:WORD_1 src1_sel:DWORD
	v_mul_f16_sdwa v53, v35, v60 dst_sel:DWORD dst_unused:UNUSED_PAD src0_sel:WORD_1 src1_sel:DWORD
	v_lshrrev_b32_e32 v80, 16, v47
	v_fma_f16 v52, v35, v60, v52
	v_fma_f16 v35, v35, v76, -v53
	v_mul_f16_sdwa v53, v28, v79 dst_sel:DWORD dst_unused:UNUSED_PAD src0_sel:WORD_1 src1_sel:DWORD
	v_mul_f16_sdwa v54, v28, v62 dst_sel:DWORD dst_unused:UNUSED_PAD src0_sel:WORD_1 src1_sel:DWORD
	v_fma_f16 v53, v28, v62, v53
	v_fma_f16 v28, v28, v79, -v54
	v_mul_f16_sdwa v54, v29, v80 dst_sel:DWORD dst_unused:UNUSED_PAD src0_sel:WORD_1 src1_sel:DWORD
	v_lshrrev_b32_e32 v81, 16, v64
	v_fma_f16 v54, v29, v47, v54
	v_mul_f16_sdwa v47, v29, v47 dst_sel:DWORD dst_unused:UNUSED_PAD src0_sel:WORD_1 src1_sel:DWORD
	v_add_f16_e32 v59, v20, v21
	v_fma_f16 v29, v29, v80, -v47
	v_mul_f16_sdwa v47, v30, v81 dst_sel:DWORD dst_unused:UNUSED_PAD src0_sel:WORD_1 src1_sel:DWORD
	s_waitcnt lgkmcnt(1)
	v_fma_f16 v59, v59, -0.5, v0
	v_sub_f16_e32 v60, v5, v11
	s_mov_b32 s3, 0xbb9c
	s_movk_i32 s5, 0x3b9c
	s_waitcnt lgkmcnt(0)
	v_lshrrev_b32_e32 v82, 16, v77
	v_fma_f16 v47, v30, v64, v47
	v_mul_f16_sdwa v57, v30, v64 dst_sel:DWORD dst_unused:UNUSED_PAD src0_sel:WORD_1 src1_sel:DWORD
	v_fma_f16 v61, v60, s3, v59
	v_sub_f16_e32 v62, v7, v9
	s_mov_b32 s2, 0xb8b4
	v_sub_f16_e32 v63, v83, v20
	v_sub_f16_e32 v64, v22, v21
	v_fma_f16 v59, v60, s5, v59
	s_movk_i32 s6, 0x38b4
	v_fma_f16 v30, v30, v81, -v57
	v_mul_f16_sdwa v57, v31, v82 dst_sel:DWORD dst_unused:UNUSED_PAD src0_sel:WORD_1 src1_sel:DWORD
	v_mul_f16_sdwa v58, v31, v77 dst_sel:DWORD dst_unused:UNUSED_PAD src0_sel:WORD_1 src1_sel:DWORD
	v_fma_f16 v61, v62, s2, v61
	v_add_f16_e32 v63, v63, v64
	s_movk_i32 s4, 0x34f2
	v_fma_f16 v59, v62, s6, v59
	v_fma_f16 v57, v31, v77, v57
	v_fma_f16 v31, v31, v82, -v58
	v_add_f16_e32 v58, v0, v83
	v_fma_f16 v61, v63, s4, v61
	v_fma_f16 v59, v63, s4, v59
	v_add_f16_e32 v63, v83, v22
	v_lshrrev_b32_e32 v3, 16, v0
	v_add_f16_e32 v58, v58, v20
	v_fma_f16 v0, v63, -0.5, v0
	v_add_f16_e32 v58, v58, v21
	v_fma_f16 v63, v62, s5, v0
	v_sub_f16_e32 v64, v20, v83
	v_sub_f16_e32 v65, v21, v22
	v_fma_f16 v0, v62, s3, v0
	v_add_f16_e32 v62, v7, v9
	v_add_f16_e32 v58, v58, v22
	v_fma_f16 v63, v60, s2, v63
	v_add_f16_e32 v64, v64, v65
	v_fma_f16 v0, v60, s6, v0
	v_fma_f16 v62, v62, -0.5, v3
	v_sub_f16_e32 v22, v83, v22
	v_fma_f16 v63, v64, s4, v63
	v_fma_f16 v0, v64, s4, v0
	;; [unrolled: 1-line block ×3, first 2 shown]
	v_sub_f16_e32 v20, v20, v21
	v_fma_f16 v21, v20, s6, v64
	v_sub_f16_e32 v64, v5, v7
	v_sub_f16_e32 v65, v11, v9
	v_fma_f16 v62, v22, s3, v62
	v_add_f16_e32 v64, v64, v65
	v_fma_f16 v62, v20, s2, v62
	v_add_f16_e32 v60, v3, v5
	v_fma_f16 v21, v64, s4, v21
	v_fma_f16 v62, v64, s4, v62
	v_add_f16_e32 v64, v5, v11
	v_add_f16_e32 v60, v60, v7
	v_fma_f16 v3, v64, -0.5, v3
	v_add_f16_e32 v60, v60, v9
	v_fma_f16 v64, v20, s3, v3
	v_sub_f16_e32 v5, v7, v5
	v_sub_f16_e32 v7, v9, v11
	v_add_f16_e32 v9, v24, v25
	v_add_f16_e32 v60, v60, v11
	v_fma_f16 v64, v22, s6, v64
	v_add_f16_e32 v5, v5, v7
	v_fma_f16 v3, v20, s5, v3
	v_fma_f16 v9, v9, -0.5, v1
	v_sub_f16_e32 v11, v15, v27
	v_fma_f16 v7, v5, s4, v64
	v_fma_f16 v3, v22, s2, v3
	;; [unrolled: 1-line block ×3, first 2 shown]
	v_sub_f16_e32 v22, v17, v19
	v_sub_f16_e32 v64, v23, v24
	;; [unrolled: 1-line block ×3, first 2 shown]
	v_fma_f16 v9, v11, s5, v9
	v_fma_f16 v20, v22, s2, v20
	v_add_f16_e32 v64, v64, v65
	v_fma_f16 v9, v22, s6, v9
	v_fma_f16 v20, v64, s4, v20
	;; [unrolled: 1-line block ×3, first 2 shown]
	v_add_f16_e32 v64, v23, v26
	v_lshrrev_b32_e32 v13, 16, v1
	v_fma_f16 v3, v5, s4, v3
	v_add_f16_e32 v5, v1, v23
	v_fma_f16 v1, v64, -0.5, v1
	v_add_f16_e32 v5, v5, v24
	v_fma_f16 v64, v22, s5, v1
	v_fma_f16 v1, v22, s3, v1
	v_add_f16_e32 v22, v17, v19
	v_add_f16_e32 v5, v5, v25
	v_sub_f16_e32 v65, v24, v23
	v_sub_f16_e32 v67, v25, v26
	v_fma_f16 v22, v22, -0.5, v13
	v_sub_f16_e32 v23, v23, v26
	v_add_u32_e32 v2, 0x200, v109
	v_add_f16_e32 v5, v5, v26
	v_fma_f16 v64, v11, s2, v64
	v_add_f16_e32 v65, v65, v67
	v_fma_f16 v1, v11, s6, v1
	v_fma_f16 v26, v23, s5, v22
	v_sub_f16_e32 v24, v24, v25
	ds_read2_b32 v[55:56], v2 offset0:52 offset1:142
	v_fma_f16 v64, v65, s4, v64
	v_fma_f16 v1, v65, s4, v1
	;; [unrolled: 1-line block ×3, first 2 shown]
	v_sub_f16_e32 v26, v15, v17
	v_sub_f16_e32 v65, v27, v19
	v_fma_f16 v22, v23, s3, v22
	v_add_f16_e32 v26, v26, v65
	v_fma_f16 v22, v24, s2, v22
	v_add_f16_e32 v11, v13, v15
	v_fma_f16 v25, v26, s4, v25
	v_fma_f16 v22, v26, s4, v22
	v_add_f16_e32 v26, v15, v27
	v_add_f16_e32 v11, v11, v17
	v_fma_f16 v13, v26, -0.5, v13
	v_add_f16_e32 v11, v11, v19
	v_fma_f16 v26, v24, s3, v13
	v_sub_f16_e32 v15, v17, v15
	v_sub_f16_e32 v17, v19, v27
	v_fma_f16 v13, v24, s5, v13
	v_add_f16_e32 v19, v45, v46
	v_fma_f16 v26, v23, s6, v26
	v_add_f16_e32 v15, v15, v17
	v_fma_f16 v13, v23, s2, v13
	s_waitcnt lgkmcnt(0)
	v_fma_f16 v19, v19, -0.5, v55
	v_sub_f16_e32 v23, v36, v39
	v_add_f16_e32 v11, v11, v27
	v_fma_f16 v17, v15, s4, v26
	v_fma_f16 v24, v23, s3, v19
	v_sub_f16_e32 v26, v37, v38
	v_sub_f16_e32 v27, v44, v45
	;; [unrolled: 1-line block ×3, first 2 shown]
	v_fma_f16 v19, v23, s5, v19
	v_fma_f16 v24, v26, s2, v24
	v_add_f16_e32 v27, v27, v65
	v_fma_f16 v19, v26, s6, v19
	v_fma_f16 v24, v27, s4, v24
	;; [unrolled: 1-line block ×3, first 2 shown]
	v_add_f16_e32 v27, v44, v48
	v_fma_f16 v13, v15, s4, v13
	v_add_f16_e32 v15, v55, v44
	v_fma_f16 v27, v27, -0.5, v55
	v_lshrrev_b32_e32 v66, 16, v55
	v_add_f16_e32 v15, v15, v45
	v_fma_f16 v55, v26, s5, v27
	v_fma_f16 v26, v26, s3, v27
	v_add_f16_e32 v27, v37, v38
	v_add_f16_e32 v15, v15, v46
	v_sub_f16_e32 v65, v45, v44
	v_sub_f16_e32 v67, v46, v48
	v_fma_f16 v27, v27, -0.5, v66
	v_sub_f16_e32 v44, v44, v48
	v_add_f16_e32 v15, v15, v48
	v_fma_f16 v55, v23, s2, v55
	v_add_f16_e32 v65, v65, v67
	v_fma_f16 v23, v23, s6, v26
	v_fma_f16 v48, v44, s5, v27
	v_sub_f16_e32 v45, v45, v46
	v_fma_f16 v55, v65, s4, v55
	v_fma_f16 v23, v65, s4, v23
	;; [unrolled: 1-line block ×3, first 2 shown]
	v_sub_f16_e32 v48, v36, v37
	v_sub_f16_e32 v65, v39, v38
	v_fma_f16 v27, v44, s3, v27
	v_add_f16_e32 v26, v66, v36
	v_add_f16_e32 v48, v48, v65
	v_fma_f16 v27, v45, s2, v27
	v_add_f16_e32 v26, v26, v37
	v_fma_f16 v46, v48, s4, v46
	v_fma_f16 v27, v48, s4, v27
	v_add_f16_e32 v48, v36, v39
	v_add_f16_e32 v26, v26, v38
	v_fma_f16 v48, v48, -0.5, v66
	v_add_f16_e32 v26, v26, v39
	v_fma_f16 v65, v45, s3, v48
	v_sub_f16_e32 v36, v37, v36
	v_sub_f16_e32 v37, v38, v39
	v_fma_f16 v38, v45, s5, v48
	v_add_f16_e32 v39, v50, v51
	v_fma_f16 v65, v44, s6, v65
	v_add_f16_e32 v36, v36, v37
	v_fma_f16 v38, v44, s2, v38
	v_fma_f16 v39, v39, -0.5, v56
	v_sub_f16_e32 v44, v32, v35
	v_fma_f16 v37, v36, s4, v65
	v_fma_f16 v45, v44, s3, v39
	v_sub_f16_e32 v48, v33, v34
	v_sub_f16_e32 v65, v49, v50
	;; [unrolled: 1-line block ×3, first 2 shown]
	v_fma_f16 v39, v44, s5, v39
	v_fma_f16 v45, v48, s2, v45
	v_add_f16_e32 v65, v65, v66
	v_fma_f16 v39, v48, s6, v39
	v_fma_f16 v45, v65, s4, v45
	;; [unrolled: 1-line block ×3, first 2 shown]
	v_add_f16_e32 v65, v49, v52
	v_lshrrev_b32_e32 v72, 16, v56
	v_fma_f16 v36, v36, s4, v38
	v_add_f16_e32 v38, v56, v49
	v_fma_f16 v56, v65, -0.5, v56
	v_add_f16_e32 v38, v38, v50
	v_fma_f16 v65, v48, s5, v56
	v_fma_f16 v48, v48, s3, v56
	v_add_f16_e32 v56, v33, v34
	v_add_f16_e32 v38, v38, v51
	v_sub_f16_e32 v66, v50, v49
	v_sub_f16_e32 v67, v51, v52
	v_fma_f16 v56, v56, -0.5, v72
	v_sub_f16_e32 v49, v49, v52
	v_add_f16_e32 v38, v38, v52
	v_fma_f16 v65, v44, s2, v65
	v_add_f16_e32 v66, v66, v67
	v_fma_f16 v44, v44, s6, v48
	v_fma_f16 v52, v49, s5, v56
	v_sub_f16_e32 v50, v50, v51
	v_fma_f16 v65, v66, s4, v65
	v_fma_f16 v44, v66, s4, v44
	;; [unrolled: 1-line block ×3, first 2 shown]
	v_sub_f16_e32 v52, v32, v33
	v_sub_f16_e32 v66, v35, v34
	v_fma_f16 v56, v49, s3, v56
	v_add_f16_e32 v48, v72, v32
	v_add_f16_e32 v52, v52, v66
	v_fma_f16 v56, v50, s2, v56
	v_add_f16_e32 v48, v48, v33
	v_fma_f16 v51, v52, s4, v51
	v_fma_f16 v52, v52, s4, v56
	v_add_f16_e32 v56, v32, v35
	v_add_f16_e32 v48, v48, v34
	v_fma_f16 v56, v56, -0.5, v72
	v_add_f16_e32 v48, v48, v35
	v_fma_f16 v66, v50, s3, v56
	v_sub_f16_e32 v32, v33, v32
	v_sub_f16_e32 v33, v34, v35
	v_fma_f16 v34, v50, s5, v56
	v_add_f16_e32 v35, v54, v47
	v_fma_f16 v66, v49, s6, v66
	v_add_f16_e32 v32, v32, v33
	v_fma_f16 v34, v49, s2, v34
	v_fma_f16 v35, v35, -0.5, v43
	v_sub_f16_e32 v49, v28, v31
	v_fma_f16 v33, v32, s4, v66
	v_fma_f16 v50, v49, s3, v35
	v_sub_f16_e32 v56, v29, v30
	v_sub_f16_e32 v66, v53, v54
	;; [unrolled: 1-line block ×3, first 2 shown]
	v_fma_f16 v35, v49, s5, v35
	v_fma_f16 v50, v56, s2, v50
	v_add_f16_e32 v66, v66, v67
	v_fma_f16 v35, v56, s6, v35
	v_fma_f16 v50, v66, s4, v50
	v_fma_f16 v35, v66, s4, v35
	v_add_f16_e32 v66, v53, v57
	v_lshrrev_b32_e32 v78, 16, v43
	v_fma_f16 v32, v32, s4, v34
	v_add_f16_e32 v34, v43, v53
	v_fma_f16 v43, v66, -0.5, v43
	v_add_f16_e32 v34, v34, v54
	v_fma_f16 v66, v56, s5, v43
	v_fma_f16 v43, v56, s3, v43
	v_add_f16_e32 v56, v29, v30
	v_add_f16_e32 v34, v34, v47
	v_sub_f16_e32 v67, v54, v53
	v_sub_f16_e32 v68, v47, v57
	v_fma_f16 v56, v56, -0.5, v78
	v_sub_f16_e32 v53, v53, v57
	v_add_f16_e32 v34, v34, v57
	v_fma_f16 v66, v49, s2, v66
	v_add_f16_e32 v67, v67, v68
	v_fma_f16 v43, v49, s6, v43
	v_fma_f16 v57, v53, s5, v56
	v_sub_f16_e32 v47, v54, v47
	v_fma_f16 v66, v67, s4, v66
	v_fma_f16 v43, v67, s4, v43
	;; [unrolled: 1-line block ×3, first 2 shown]
	v_sub_f16_e32 v57, v28, v29
	v_sub_f16_e32 v67, v31, v30
	v_fma_f16 v56, v53, s3, v56
	v_add_f16_e32 v57, v57, v67
	v_fma_f16 v56, v47, s2, v56
	v_add_f16_e32 v49, v78, v28
	v_fma_f16 v54, v57, s4, v54
	v_fma_f16 v56, v57, s4, v56
	v_add_f16_e32 v57, v28, v31
	v_add_f16_e32 v49, v49, v29
	v_fma_f16 v57, v57, -0.5, v78
	v_add_f16_e32 v49, v49, v30
	v_fma_f16 v67, v47, s3, v57
	v_sub_f16_e32 v28, v29, v28
	v_sub_f16_e32 v29, v30, v31
	v_fma_f16 v30, v47, s5, v57
	v_pack_b32_f16 v0, v0, v3
	v_fma_f16 v67, v53, s6, v67
	v_add_f16_e32 v28, v28, v29
	v_fma_f16 v30, v53, s2, v30
	ds_write_b32 v109, v0 offset:5400
	v_pack_b32_f16 v0, v59, v62
	v_fma_f16 v29, v28, s4, v67
	v_fma_f16 v28, v28, s4, v30
	v_pack_b32_f16 v30, v58, v60
	v_pack_b32_f16 v21, v61, v21
	;; [unrolled: 1-line block ×3, first 2 shown]
	ds_write_b32 v109, v0 offset:7200
	v_pack_b32_f16 v0, v5, v11
	v_pack_b32_f16 v1, v1, v13
	ds_write_b32 v109, v21 offset:1800
	ds_write_b32 v109, v7 offset:3600
	ds_write2_b32 v109, v30, v0 offset1:90
	v_pack_b32_f16 v3, v64, v17
	ds_write_b32 v109, v1 offset:5760
	v_pack_b32_f16 v1, v9, v22
	v_pack_b32_f16 v0, v20, v25
	ds_write_b32 v109, v3 offset:3960
	ds_write_b32 v109, v1 offset:7560
	v_pack_b32_f16 v1, v15, v26
	v_pack_b32_f16 v3, v24, v46
	v_pack_b32_f16 v7, v38, v48
	ds_write2_b32 v6, v0, v3 offset0:28 offset1:118
	v_pack_b32_f16 v0, v55, v37
	ds_write2_b32 v2, v1, v7 offset0:52 offset1:142
	v_pack_b32_f16 v7, v65, v33
	v_pack_b32_f16 v3, v23, v36
	ds_write2_b32 v10, v0, v7 offset0:56 offset1:146
	v_pack_b32_f16 v0, v44, v32
	v_add_u32_e32 v7, 0x1600, v109
	v_add_f16_e32 v49, v49, v31
	v_pack_b32_f16 v5, v19, v27
	ds_write2_b32 v7, v3, v0 offset0:122 offset1:212
	v_pack_b32_f16 v0, v39, v52
	ds_write2_b32 v18, v5, v0 offset0:60 offset1:150
	v_pack_b32_f16 v0, v34, v49
	v_pack_b32_f16 v1, v45, v51
	ds_write_b32 v109, v0 offset:1440
	v_pack_b32_f16 v0, v50, v54
	ds_write2_b32 v70, v1, v0 offset0:80 offset1:170
	v_pack_b32_f16 v0, v66, v29
	ds_write_b32 v109, v0 offset:5040
	v_pack_b32_f16 v0, v43, v28
	ds_write_b32 v109, v0 offset:6840
	;; [unrolled: 2-line block ×3, first 2 shown]
	s_waitcnt lgkmcnt(0)
	s_barrier
	ds_read2_b32 v[0:1], v109 offset1:90
	s_mov_b32 s6, 0x5a912e32
	s_mov_b32 s7, 0x3f3d208a
	v_mad_u64_u32 v[21:22], s[2:3], s10, v42, 0
	s_waitcnt lgkmcnt(0)
	v_lshrrev_b32_e32 v5, 16, v0
	v_mul_f16_sdwa v3, v130, v5 dst_sel:DWORD dst_unused:UNUSED_PAD src0_sel:WORD_1 src1_sel:DWORD
	v_fma_f16 v3, v130, v0, v3
	v_cvt_f32_f16_e32 v3, v3
	s_movk_i32 s17, 0x1ff
	s_movk_i32 s14, 0xffe
	v_mul_f16_sdwa v0, v130, v0 dst_sel:DWORD dst_unused:UNUSED_PAD src0_sel:WORD_1 src1_sel:DWORD
	v_cvt_f64_f32_e32 v[19:20], v3
	v_mov_b32_e32 v3, v22
	v_fma_f16 v0, v130, v5, -v0
	v_cvt_f32_f16_e32 v0, v0
	v_mul_f64 v[23:24], v[19:20], s[6:7]
	v_mad_u64_u32 v[19:20], s[2:3], s11, v42, v[3:4]
	v_cvt_f64_f32_e32 v[25:26], v0
	v_mov_b32_e32 v20, 0x7c00
	s_movk_i32 s15, 0x40f
	s_mov_b32 s16, 0x8000
	v_mul_f64 v[25:26], v[25:26], s[6:7]
	v_and_or_b32 v3, v24, s17, v23
	v_cmp_ne_u32_e32 vcc, 0, v3
	v_cndmask_b32_e64 v3, 0, 1, vcc
	v_lshrrev_b32_e32 v7, 8, v24
	v_bfe_u32 v9, v24, 20, 11
	v_and_or_b32 v3, v7, s14, v3
	v_sub_u32_e32 v11, 0x3f1, v9
	v_or_b32_e32 v7, 0x1000, v3
	v_med3_i32 v11, v11, 0, 13
	v_lshrrev_b32_e32 v13, v11, v7
	v_lshlrev_b32_e32 v11, v11, v13
	v_cmp_ne_u32_e32 vcc, v11, v7
	v_cndmask_b32_e64 v7, 0, 1, vcc
	v_add_u32_e32 v9, 0xfffffc10, v9
	v_or_b32_e32 v7, v13, v7
	v_lshl_or_b32 v11, v9, 12, v3
	v_cmp_gt_i32_e32 vcc, 1, v9
	v_cndmask_b32_e32 v7, v11, v7, vcc
	v_and_b32_e32 v11, 7, v7
	v_cmp_lt_i32_e32 vcc, 5, v11
	v_cmp_eq_u32_e64 s[2:3], 3, v11
	v_lshrrev_b32_e32 v7, 2, v7
	s_or_b64 vcc, s[2:3], vcc
	v_addc_co_u32_e32 v5, vcc, 0, v7, vcc
	v_cmp_gt_i32_e32 vcc, 31, v9
	v_cndmask_b32_e32 v0, v20, v5, vcc
	v_cmp_ne_u32_e32 vcc, 0, v3
	v_cndmask_b32_e64 v3, 0, 1, vcc
	v_lshl_or_b32 v3, v3, 9, v20
	v_cmp_eq_u32_e32 vcc, s15, v9
	v_cndmask_b32_e32 v0, v0, v3, vcc
	v_lshrrev_b32_e32 v3, 16, v24
	v_and_or_b32 v5, v3, s16, v0
	v_and_or_b32 v0, v26, s17, v25
	v_cmp_ne_u32_e32 vcc, 0, v0
	v_cndmask_b32_e64 v0, 0, 1, vcc
	v_lshrrev_b32_e32 v3, 8, v26
	v_bfe_u32 v7, v26, 20, 11
	v_and_or_b32 v0, v3, s14, v0
	v_sub_u32_e32 v9, 0x3f1, v7
	v_or_b32_e32 v3, 0x1000, v0
	v_med3_i32 v9, v9, 0, 13
	v_lshrrev_b32_e32 v11, v9, v3
	v_lshlrev_b32_e32 v9, v9, v11
	v_cmp_ne_u32_e32 vcc, v9, v3
	v_cndmask_b32_e64 v3, 0, 1, vcc
	v_add_u32_e32 v7, 0xfffffc10, v7
	v_or_b32_e32 v3, v11, v3
	v_lshl_or_b32 v9, v7, 12, v0
	v_cmp_gt_i32_e32 vcc, 1, v7
	v_cndmask_b32_e32 v3, v9, v3, vcc
	v_and_b32_e32 v9, 7, v3
	v_cmp_lt_i32_e32 vcc, 5, v9
	v_cmp_eq_u32_e64 s[2:3], 3, v9
	v_lshrrev_b32_e32 v3, 2, v3
	s_or_b64 vcc, s[2:3], vcc
	v_addc_co_u32_e32 v3, vcc, 0, v3, vcc
	v_cmp_gt_i32_e32 vcc, 31, v7
	v_cndmask_b32_e32 v3, v20, v3, vcc
	v_cmp_ne_u32_e32 vcc, 0, v0
	v_cndmask_b32_e64 v0, 0, 1, vcc
	v_lshl_or_b32 v0, v0, 9, v20
	v_cmp_eq_u32_e32 vcc, s15, v7
	v_mad_u64_u32 v[23:24], s[2:3], s8, v128, 0
	v_cndmask_b32_e32 v7, v3, v0, vcc
	ds_read2_b32 v[2:3], v2 offset0:97 offset1:187
	v_mov_b32_e32 v0, v24
	v_mad_u64_u32 v[24:25], s[2:3], s9, v128, v[0:1]
	v_lshrrev_b32_e32 v9, 16, v26
	s_waitcnt lgkmcnt(0)
	v_lshrrev_b32_e32 v0, 16, v2
	v_mul_f16_sdwa v11, v129, v0 dst_sel:DWORD dst_unused:UNUSED_PAD src0_sel:WORD_1 src1_sel:DWORD
	v_fma_f16 v11, v129, v2, v11
	v_cvt_f32_f16_e32 v11, v11
	v_mov_b32_e32 v22, v19
	v_lshlrev_b64 v[21:22], 2, v[21:22]
	v_and_or_b32 v7, v9, s16, v7
	v_cvt_f64_f32_e32 v[25:26], v11
	v_and_b32_e32 v5, 0xffff, v5
	v_lshl_or_b32 v5, v7, 16, v5
	v_mov_b32_e32 v7, s13
	v_mul_f64 v[25:26], v[25:26], s[6:7]
	v_add_co_u32_e32 v9, vcc, s12, v21
	v_addc_co_u32_e32 v7, vcc, v7, v22, vcc
	v_lshlrev_b64 v[21:22], 2, v[23:24]
	v_mul_f16_sdwa v2, v129, v2 dst_sel:DWORD dst_unused:UNUSED_PAD src0_sel:WORD_1 src1_sel:DWORD
	v_add_co_u32_e32 v21, vcc, v9, v21
	v_addc_co_u32_e32 v22, vcc, v7, v22, vcc
	global_store_dword v[21:22], v5, off
	v_and_or_b32 v5, v26, s17, v25
	v_cmp_ne_u32_e32 vcc, 0, v5
	v_cndmask_b32_e64 v5, 0, 1, vcc
	v_lshrrev_b32_e32 v7, 8, v26
	v_bfe_u32 v9, v26, 20, 11
	v_and_or_b32 v5, v7, s14, v5
	v_sub_u32_e32 v11, 0x3f1, v9
	v_fma_f16 v0, v129, v0, -v2
	v_or_b32_e32 v7, 0x1000, v5
	v_med3_i32 v11, v11, 0, 13
	v_cvt_f32_f16_e32 v0, v0
	v_lshrrev_b32_e32 v13, v11, v7
	v_lshlrev_b32_e32 v11, v11, v13
	v_cmp_ne_u32_e32 vcc, v11, v7
	v_cndmask_b32_e64 v7, 0, 1, vcc
	v_add_u32_e32 v9, 0xfffffc10, v9
	v_cvt_f64_f32_e32 v[23:24], v0
	v_or_b32_e32 v7, v13, v7
	v_lshl_or_b32 v11, v9, 12, v5
	v_cmp_gt_i32_e32 vcc, 1, v9
	v_cndmask_b32_e32 v7, v11, v7, vcc
	v_and_b32_e32 v11, 7, v7
	v_cmp_lt_i32_e32 vcc, 5, v11
	v_cmp_eq_u32_e64 s[2:3], 3, v11
	v_mul_f64 v[23:24], v[23:24], s[6:7]
	v_lshrrev_b32_e32 v2, 2, v7
	s_or_b64 vcc, s[2:3], vcc
	v_addc_co_u32_e32 v0, vcc, 0, v2, vcc
	v_cmp_gt_i32_e32 vcc, 31, v9
	v_cndmask_b32_e32 v0, v20, v0, vcc
	v_cmp_ne_u32_e32 vcc, 0, v5
	v_cndmask_b32_e64 v2, 0, 1, vcc
	v_lshl_or_b32 v2, v2, 9, v20
	v_cmp_eq_u32_e32 vcc, s15, v9
	v_cndmask_b32_e32 v0, v0, v2, vcc
	v_lshrrev_b32_e32 v2, 16, v26
	v_and_or_b32 v0, v2, s16, v0
	v_and_or_b32 v2, v24, s17, v23
	v_cmp_ne_u32_e32 vcc, 0, v2
	v_cndmask_b32_e64 v2, 0, 1, vcc
	v_lshrrev_b32_e32 v5, 8, v24
	v_bfe_u32 v7, v24, 20, 11
	v_and_or_b32 v2, v5, s14, v2
	v_sub_u32_e32 v9, 0x3f1, v7
	v_or_b32_e32 v5, 0x1000, v2
	v_med3_i32 v9, v9, 0, 13
	v_lshrrev_b32_e32 v11, v9, v5
	v_lshlrev_b32_e32 v9, v9, v11
	v_cmp_ne_u32_e32 vcc, v9, v5
	v_cndmask_b32_e64 v5, 0, 1, vcc
	v_add_u32_e32 v7, 0xfffffc10, v7
	v_or_b32_e32 v5, v11, v5
	v_lshl_or_b32 v9, v7, 12, v2
	v_cmp_gt_i32_e32 vcc, 1, v7
	v_cndmask_b32_e32 v5, v9, v5, vcc
	v_and_b32_e32 v9, 7, v5
	v_cmp_lt_i32_e32 vcc, 5, v9
	v_cmp_eq_u32_e64 s[2:3], 3, v9
	v_lshrrev_b32_e32 v5, 2, v5
	s_or_b64 vcc, s[2:3], vcc
	v_addc_co_u32_e32 v5, vcc, 0, v5, vcc
	v_cmp_gt_i32_e32 vcc, 31, v7
	v_cndmask_b32_e32 v9, v20, v5, vcc
	ds_read2_b32 v[4:5], v4 offset0:66 offset1:156
	v_cmp_ne_u32_e32 vcc, 0, v2
	v_cndmask_b32_e64 v2, 0, 1, vcc
	v_lshl_or_b32 v2, v2, 9, v20
	v_cmp_eq_u32_e32 vcc, s15, v7
	v_cndmask_b32_e32 v2, v9, v2, vcc
	v_lshrrev_b32_e32 v7, 16, v24
	v_and_or_b32 v2, v7, s16, v2
	s_waitcnt lgkmcnt(0)
	v_lshrrev_b32_e32 v7, 16, v4
	v_mul_f16_sdwa v9, v127, v7 dst_sel:DWORD dst_unused:UNUSED_PAD src0_sel:WORD_1 src1_sel:DWORD
	v_fma_f16 v9, v127, v4, v9
	v_cvt_f32_f16_e32 v9, v9
	s_mul_i32 s2, s9, 0xe1
	s_mul_hi_u32 s3, s8, 0xe1
	s_add_i32 s3, s3, s2
	v_cvt_f64_f32_e32 v[23:24], v9
	s_mul_i32 s2, s8, 0xe1
	v_and_b32_e32 v0, 0xffff, v0
	s_lshl_b64 s[10:11], s[2:3], 2
	v_mul_f64 v[23:24], v[23:24], s[6:7]
	v_lshl_or_b32 v0, v2, 16, v0
	v_mov_b32_e32 v2, s11
	v_add_co_u32_e32 v21, vcc, s10, v21
	v_addc_co_u32_e32 v22, vcc, v22, v2, vcc
	global_store_dword v[21:22], v0, off
	v_and_or_b32 v0, v24, s17, v23
	v_cmp_ne_u32_e32 vcc, 0, v0
	v_cndmask_b32_e64 v0, 0, 1, vcc
	v_lshrrev_b32_e32 v9, 8, v24
	v_bfe_u32 v11, v24, 20, 11
	v_mul_f16_sdwa v4, v127, v4 dst_sel:DWORD dst_unused:UNUSED_PAD src0_sel:WORD_1 src1_sel:DWORD
	v_and_or_b32 v0, v9, s14, v0
	v_sub_u32_e32 v13, 0x3f1, v11
	v_fma_f16 v4, v127, v7, -v4
	v_or_b32_e32 v9, 0x1000, v0
	v_med3_i32 v13, v13, 0, 13
	v_cvt_f32_f16_e32 v4, v4
	v_lshrrev_b32_e32 v15, v13, v9
	v_lshlrev_b32_e32 v13, v13, v15
	v_cmp_ne_u32_e32 vcc, v13, v9
	v_cndmask_b32_e64 v9, 0, 1, vcc
	v_add_u32_e32 v11, 0xfffffc10, v11
	v_cvt_f64_f32_e32 v[25:26], v4
	v_or_b32_e32 v9, v15, v9
	v_lshl_or_b32 v13, v11, 12, v0
	v_cmp_gt_i32_e32 vcc, 1, v11
	v_cndmask_b32_e32 v9, v13, v9, vcc
	v_and_b32_e32 v13, 7, v9
	v_cmp_lt_i32_e32 vcc, 5, v13
	v_cmp_eq_u32_e64 s[2:3], 3, v13
	v_mul_f64 v[25:26], v[25:26], s[6:7]
	v_lshrrev_b32_e32 v7, 2, v9
	s_or_b64 vcc, s[2:3], vcc
	v_addc_co_u32_e32 v4, vcc, 0, v7, vcc
	v_cmp_gt_i32_e32 vcc, 31, v11
	v_cndmask_b32_e32 v4, v20, v4, vcc
	v_cmp_ne_u32_e32 vcc, 0, v0
	v_cndmask_b32_e64 v0, 0, 1, vcc
	v_lshl_or_b32 v0, v0, 9, v20
	v_cmp_eq_u32_e32 vcc, s15, v11
	v_cndmask_b32_e32 v0, v4, v0, vcc
	v_lshrrev_b32_e32 v4, 16, v24
	v_and_or_b32 v0, v4, s16, v0
	v_and_or_b32 v4, v26, s17, v25
	v_cmp_ne_u32_e32 vcc, 0, v4
	v_cndmask_b32_e64 v4, 0, 1, vcc
	v_lshrrev_b32_e32 v7, 8, v26
	v_bfe_u32 v9, v26, 20, 11
	v_and_or_b32 v4, v7, s14, v4
	v_sub_u32_e32 v11, 0x3f1, v9
	v_or_b32_e32 v7, 0x1000, v4
	v_med3_i32 v11, v11, 0, 13
	v_lshrrev_b32_e32 v13, v11, v7
	v_lshlrev_b32_e32 v11, v11, v13
	v_cmp_ne_u32_e32 vcc, v11, v7
	v_cndmask_b32_e64 v7, 0, 1, vcc
	v_add_u32_e32 v9, 0xfffffc10, v9
	v_or_b32_e32 v7, v13, v7
	v_lshl_or_b32 v11, v9, 12, v4
	v_cmp_gt_i32_e32 vcc, 1, v9
	v_cndmask_b32_e32 v7, v11, v7, vcc
	v_and_b32_e32 v11, 7, v7
	v_cmp_lt_i32_e32 vcc, 5, v11
	v_cmp_eq_u32_e64 s[2:3], 3, v11
	v_lshrrev_b32_e32 v11, 2, v7
	ds_read2_b32 v[6:7], v6 offset0:163 offset1:253
	s_or_b64 vcc, s[2:3], vcc
	v_addc_co_u32_e32 v11, vcc, 0, v11, vcc
	v_cmp_gt_i32_e32 vcc, 31, v9
	s_waitcnt lgkmcnt(0)
	v_lshrrev_b32_e32 v13, 16, v6
	v_mul_f16_sdwa v15, v126, v13 dst_sel:DWORD dst_unused:UNUSED_PAD src0_sel:WORD_1 src1_sel:DWORD
	v_fma_f16 v15, v126, v6, v15
	v_cvt_f32_f16_e32 v15, v15
	v_cndmask_b32_e32 v11, v20, v11, vcc
	v_cmp_ne_u32_e32 vcc, 0, v4
	v_cndmask_b32_e64 v4, 0, 1, vcc
	v_cvt_f64_f32_e32 v[23:24], v15
	v_lshl_or_b32 v4, v4, 9, v20
	v_cmp_eq_u32_e32 vcc, s15, v9
	v_cndmask_b32_e32 v4, v11, v4, vcc
	v_mul_f64 v[23:24], v[23:24], s[6:7]
	v_lshrrev_b32_e32 v9, 16, v26
	v_and_or_b32 v4, v9, s16, v4
	v_and_b32_e32 v0, 0xffff, v0
	v_add_co_u32_e32 v21, vcc, s10, v21
	v_lshl_or_b32 v0, v4, 16, v0
	v_addc_co_u32_e32 v22, vcc, v22, v2, vcc
	global_store_dword v[21:22], v0, off
	v_and_or_b32 v0, v24, s17, v23
	v_cmp_ne_u32_e32 vcc, 0, v0
	v_cndmask_b32_e64 v0, 0, 1, vcc
	v_lshrrev_b32_e32 v4, 8, v24
	v_bfe_u32 v9, v24, 20, 11
	v_mul_f16_sdwa v6, v126, v6 dst_sel:DWORD dst_unused:UNUSED_PAD src0_sel:WORD_1 src1_sel:DWORD
	v_and_or_b32 v0, v4, s14, v0
	v_sub_u32_e32 v11, 0x3f1, v9
	v_fma_f16 v6, v126, v13, -v6
	v_or_b32_e32 v4, 0x1000, v0
	v_med3_i32 v11, v11, 0, 13
	v_cvt_f32_f16_e32 v6, v6
	v_lshrrev_b32_e32 v15, v11, v4
	v_lshlrev_b32_e32 v11, v11, v15
	v_cmp_ne_u32_e32 vcc, v11, v4
	v_cndmask_b32_e64 v4, 0, 1, vcc
	v_add_u32_e32 v9, 0xfffffc10, v9
	v_cvt_f64_f32_e32 v[25:26], v6
	v_or_b32_e32 v4, v15, v4
	v_lshl_or_b32 v11, v9, 12, v0
	v_cmp_gt_i32_e32 vcc, 1, v9
	v_cndmask_b32_e32 v4, v11, v4, vcc
	v_and_b32_e32 v11, 7, v4
	v_cmp_lt_i32_e32 vcc, 5, v11
	v_cmp_eq_u32_e64 s[2:3], 3, v11
	v_mul_f64 v[25:26], v[25:26], s[6:7]
	v_lshrrev_b32_e32 v4, 2, v4
	s_or_b64 vcc, s[2:3], vcc
	v_addc_co_u32_e32 v4, vcc, 0, v4, vcc
	v_cmp_gt_i32_e32 vcc, 31, v9
	v_cndmask_b32_e32 v4, v20, v4, vcc
	v_cmp_ne_u32_e32 vcc, 0, v0
	v_cndmask_b32_e64 v0, 0, 1, vcc
	v_lshl_or_b32 v0, v0, 9, v20
	v_cmp_eq_u32_e32 vcc, s15, v9
	v_cndmask_b32_e32 v0, v4, v0, vcc
	v_lshrrev_b32_e32 v4, 16, v24
	v_and_or_b32 v0, v4, s16, v0
	v_and_or_b32 v4, v26, s17, v25
	v_cmp_ne_u32_e32 vcc, 0, v4
	v_cndmask_b32_e64 v4, 0, 1, vcc
	v_lshrrev_b32_e32 v6, 8, v26
	v_bfe_u32 v9, v26, 20, 11
	v_and_or_b32 v4, v6, s14, v4
	v_sub_u32_e32 v11, 0x3f1, v9
	v_or_b32_e32 v6, 0x1000, v4
	v_med3_i32 v11, v11, 0, 13
	v_lshrrev_b32_e32 v13, v11, v6
	v_lshlrev_b32_e32 v11, v11, v13
	v_cmp_ne_u32_e32 vcc, v11, v6
	v_cndmask_b32_e64 v6, 0, 1, vcc
	v_add_u32_e32 v11, 0xfffffc10, v9
	v_or_b32_e32 v6, v13, v6
	v_lshl_or_b32 v9, v11, 12, v4
	v_cmp_gt_i32_e32 vcc, 1, v11
	v_cndmask_b32_e32 v6, v9, v6, vcc
	v_and_b32_e32 v9, 7, v6
	v_cmp_lt_i32_e32 vcc, 5, v9
	v_cmp_eq_u32_e64 s[2:3], 3, v9
	ds_read2_b32 v[8:9], v8 offset0:132 offset1:222
	v_lshrrev_b32_e32 v6, 2, v6
	s_or_b64 vcc, s[2:3], vcc
	v_addc_co_u32_e32 v6, vcc, 0, v6, vcc
	s_waitcnt lgkmcnt(0)
	v_lshrrev_b32_e32 v13, 16, v8
	v_mul_f16_sdwa v15, v125, v13 dst_sel:DWORD dst_unused:UNUSED_PAD src0_sel:WORD_1 src1_sel:DWORD
	v_fma_f16 v15, v125, v8, v15
	v_cvt_f32_f16_e32 v15, v15
	v_cmp_gt_i32_e32 vcc, 31, v11
	v_cndmask_b32_e32 v6, v20, v6, vcc
	v_cmp_ne_u32_e32 vcc, 0, v4
	v_cvt_f64_f32_e32 v[23:24], v15
	v_cndmask_b32_e64 v4, 0, 1, vcc
	v_lshl_or_b32 v4, v4, 9, v20
	v_cmp_eq_u32_e32 vcc, s15, v11
	v_mul_f64 v[23:24], v[23:24], s[6:7]
	v_cndmask_b32_e32 v4, v6, v4, vcc
	v_lshrrev_b32_e32 v6, 16, v26
	v_and_or_b32 v4, v6, s16, v4
	v_and_b32_e32 v0, 0xffff, v0
	v_add_co_u32_e32 v21, vcc, s10, v21
	v_lshl_or_b32 v0, v4, 16, v0
	v_addc_co_u32_e32 v22, vcc, v22, v2, vcc
	global_store_dword v[21:22], v0, off
	v_and_or_b32 v0, v24, s17, v23
	v_cmp_ne_u32_e32 vcc, 0, v0
	v_cndmask_b32_e64 v0, 0, 1, vcc
	v_lshrrev_b32_e32 v4, 8, v24
	v_bfe_u32 v6, v24, 20, 11
	v_mul_f16_sdwa v8, v125, v8 dst_sel:DWORD dst_unused:UNUSED_PAD src0_sel:WORD_1 src1_sel:DWORD
	v_and_or_b32 v0, v4, s14, v0
	v_sub_u32_e32 v11, 0x3f1, v6
	v_fma_f16 v8, v125, v13, -v8
	v_or_b32_e32 v4, 0x1000, v0
	v_med3_i32 v11, v11, 0, 13
	v_cvt_f32_f16_e32 v8, v8
	v_lshrrev_b32_e32 v15, v11, v4
	v_lshlrev_b32_e32 v11, v11, v15
	v_cmp_ne_u32_e32 vcc, v11, v4
	v_cndmask_b32_e64 v4, 0, 1, vcc
	v_add_u32_e32 v6, 0xfffffc10, v6
	v_cvt_f64_f32_e32 v[25:26], v8
	v_or_b32_e32 v4, v15, v4
	v_lshl_or_b32 v11, v6, 12, v0
	v_cmp_gt_i32_e32 vcc, 1, v6
	v_cndmask_b32_e32 v4, v11, v4, vcc
	v_and_b32_e32 v11, 7, v4
	v_cmp_lt_i32_e32 vcc, 5, v11
	v_cmp_eq_u32_e64 s[2:3], 3, v11
	v_mul_f64 v[25:26], v[25:26], s[6:7]
	v_lshrrev_b32_e32 v4, 2, v4
	s_or_b64 vcc, s[2:3], vcc
	v_addc_co_u32_e32 v4, vcc, 0, v4, vcc
	v_cmp_gt_i32_e32 vcc, 31, v6
	v_cndmask_b32_e32 v4, v20, v4, vcc
	v_cmp_ne_u32_e32 vcc, 0, v0
	v_cndmask_b32_e64 v0, 0, 1, vcc
	v_lshl_or_b32 v0, v0, 9, v20
	v_cmp_eq_u32_e32 vcc, s15, v6
	v_cndmask_b32_e32 v0, v4, v0, vcc
	v_lshrrev_b32_e32 v4, 16, v24
	v_and_or_b32 v0, v4, s16, v0
	v_and_or_b32 v4, v26, s17, v25
	v_cmp_ne_u32_e32 vcc, 0, v4
	v_cndmask_b32_e64 v4, 0, 1, vcc
	v_lshrrev_b32_e32 v6, 8, v26
	v_bfe_u32 v8, v26, 20, 11
	v_and_or_b32 v4, v6, s14, v4
	v_sub_u32_e32 v11, 0x3f1, v8
	v_or_b32_e32 v6, 0x1000, v4
	v_med3_i32 v11, v11, 0, 13
	v_lshrrev_b32_e32 v13, v11, v6
	v_lshlrev_b32_e32 v11, v11, v13
	v_cmp_ne_u32_e32 vcc, v11, v6
	v_cndmask_b32_e64 v6, 0, 1, vcc
	v_add_u32_e32 v8, 0xfffffc10, v8
	v_or_b32_e32 v6, v13, v6
	v_lshl_or_b32 v11, v8, 12, v4
	v_cmp_gt_i32_e32 vcc, 1, v8
	v_cndmask_b32_e32 v6, v11, v6, vcc
	v_and_b32_e32 v11, 7, v6
	v_cmp_lt_i32_e32 vcc, 5, v11
	v_cmp_eq_u32_e64 s[2:3], 3, v11
	ds_read2_b32 v[10:11], v10 offset0:101 offset1:191
	v_lshrrev_b32_e32 v6, 2, v6
	s_or_b64 vcc, s[2:3], vcc
	v_addc_co_u32_e32 v6, vcc, 0, v6, vcc
	s_waitcnt lgkmcnt(0)
	v_lshrrev_b32_e32 v13, 16, v10
	v_mul_f16_sdwa v15, v123, v13 dst_sel:DWORD dst_unused:UNUSED_PAD src0_sel:WORD_1 src1_sel:DWORD
	v_fma_f16 v15, v123, v10, v15
	v_cvt_f32_f16_e32 v15, v15
	v_cmp_gt_i32_e32 vcc, 31, v8
	v_cndmask_b32_e32 v6, v20, v6, vcc
	v_cmp_ne_u32_e32 vcc, 0, v4
	v_cvt_f64_f32_e32 v[23:24], v15
	v_cndmask_b32_e64 v4, 0, 1, vcc
	v_lshl_or_b32 v4, v4, 9, v20
	v_cmp_eq_u32_e32 vcc, s15, v8
	v_mul_f64 v[23:24], v[23:24], s[6:7]
	v_cndmask_b32_e32 v4, v6, v4, vcc
	v_lshrrev_b32_e32 v6, 16, v26
	v_and_or_b32 v4, v6, s16, v4
	v_and_b32_e32 v0, 0xffff, v0
	v_add_co_u32_e32 v21, vcc, s10, v21
	v_lshl_or_b32 v0, v4, 16, v0
	v_addc_co_u32_e32 v22, vcc, v22, v2, vcc
	global_store_dword v[21:22], v0, off
	v_and_or_b32 v0, v24, s17, v23
	v_cmp_ne_u32_e32 vcc, 0, v0
	v_cndmask_b32_e64 v0, 0, 1, vcc
	v_lshrrev_b32_e32 v4, 8, v24
	v_bfe_u32 v6, v24, 20, 11
	v_mul_f16_sdwa v10, v123, v10 dst_sel:DWORD dst_unused:UNUSED_PAD src0_sel:WORD_1 src1_sel:DWORD
	v_and_or_b32 v0, v4, s14, v0
	v_sub_u32_e32 v8, 0x3f1, v6
	v_fma_f16 v10, v123, v13, -v10
	v_or_b32_e32 v4, 0x1000, v0
	v_med3_i32 v8, v8, 0, 13
	v_cvt_f32_f16_e32 v10, v10
	v_lshrrev_b32_e32 v15, v8, v4
	v_lshlrev_b32_e32 v8, v8, v15
	v_cmp_ne_u32_e32 vcc, v8, v4
	v_cndmask_b32_e64 v4, 0, 1, vcc
	v_add_u32_e32 v6, 0xfffffc10, v6
	v_cvt_f64_f32_e32 v[25:26], v10
	v_or_b32_e32 v4, v15, v4
	v_lshl_or_b32 v8, v6, 12, v0
	v_cmp_gt_i32_e32 vcc, 1, v6
	v_cndmask_b32_e32 v4, v8, v4, vcc
	v_and_b32_e32 v8, 7, v4
	v_cmp_lt_i32_e32 vcc, 5, v8
	v_cmp_eq_u32_e64 s[2:3], 3, v8
	v_mul_f64 v[25:26], v[25:26], s[6:7]
	v_lshrrev_b32_e32 v4, 2, v4
	s_or_b64 vcc, s[2:3], vcc
	v_addc_co_u32_e32 v4, vcc, 0, v4, vcc
	v_cmp_gt_i32_e32 vcc, 31, v6
	v_cndmask_b32_e32 v4, v20, v4, vcc
	v_cmp_ne_u32_e32 vcc, 0, v0
	v_cndmask_b32_e64 v0, 0, 1, vcc
	v_lshl_or_b32 v0, v0, 9, v20
	v_cmp_eq_u32_e32 vcc, s15, v6
	v_cndmask_b32_e32 v0, v4, v0, vcc
	v_lshrrev_b32_e32 v4, 16, v24
	v_and_or_b32 v0, v4, s16, v0
	v_and_or_b32 v4, v26, s17, v25
	v_cmp_ne_u32_e32 vcc, 0, v4
	v_cndmask_b32_e64 v4, 0, 1, vcc
	v_lshrrev_b32_e32 v6, 8, v26
	v_bfe_u32 v8, v26, 20, 11
	v_and_or_b32 v4, v6, s14, v4
	v_sub_u32_e32 v10, 0x3f1, v8
	v_or_b32_e32 v6, 0x1000, v4
	v_med3_i32 v10, v10, 0, 13
	v_lshrrev_b32_e32 v13, v10, v6
	v_lshlrev_b32_e32 v10, v10, v13
	v_cmp_ne_u32_e32 vcc, v10, v6
	v_cndmask_b32_e64 v6, 0, 1, vcc
	v_or_b32_e32 v6, v13, v6
	ds_read2_b32 v[12:13], v12 offset0:70 offset1:160
	v_add_u32_e32 v8, 0xfffffc10, v8
	v_lshl_or_b32 v10, v8, 12, v4
	v_cmp_gt_i32_e32 vcc, 1, v8
	v_cndmask_b32_e32 v6, v10, v6, vcc
	v_and_b32_e32 v10, 7, v6
	v_cmp_lt_i32_e32 vcc, 5, v10
	v_cmp_eq_u32_e64 s[2:3], 3, v10
	s_waitcnt lgkmcnt(0)
	v_lshrrev_b32_e32 v10, 16, v12
	v_mul_f16_sdwa v15, v124, v10 dst_sel:DWORD dst_unused:UNUSED_PAD src0_sel:WORD_1 src1_sel:DWORD
	v_fma_f16 v15, v124, v12, v15
	v_cvt_f32_f16_e32 v15, v15
	v_lshrrev_b32_e32 v6, 2, v6
	s_or_b64 vcc, s[2:3], vcc
	v_addc_co_u32_e32 v6, vcc, 0, v6, vcc
	v_cvt_f64_f32_e32 v[23:24], v15
	v_cmp_gt_i32_e32 vcc, 31, v8
	v_cndmask_b32_e32 v6, v20, v6, vcc
	v_cmp_ne_u32_e32 vcc, 0, v4
	v_mul_f64 v[23:24], v[23:24], s[6:7]
	v_cndmask_b32_e64 v4, 0, 1, vcc
	v_lshl_or_b32 v4, v4, 9, v20
	v_cmp_eq_u32_e32 vcc, s15, v8
	v_cndmask_b32_e32 v4, v6, v4, vcc
	v_lshrrev_b32_e32 v6, 16, v26
	v_and_or_b32 v4, v6, s16, v4
	v_and_b32_e32 v0, 0xffff, v0
	v_add_co_u32_e32 v21, vcc, s10, v21
	v_lshl_or_b32 v0, v4, 16, v0
	v_addc_co_u32_e32 v22, vcc, v22, v2, vcc
	global_store_dword v[21:22], v0, off
	v_and_or_b32 v0, v24, s17, v23
	v_cmp_ne_u32_e32 vcc, 0, v0
	v_cndmask_b32_e64 v0, 0, 1, vcc
	v_lshrrev_b32_e32 v4, 8, v24
	v_bfe_u32 v6, v24, 20, 11
	v_mul_f16_sdwa v12, v124, v12 dst_sel:DWORD dst_unused:UNUSED_PAD src0_sel:WORD_1 src1_sel:DWORD
	v_and_or_b32 v0, v4, s14, v0
	v_sub_u32_e32 v8, 0x3f1, v6
	v_fma_f16 v10, v124, v10, -v12
	v_or_b32_e32 v4, 0x1000, v0
	v_med3_i32 v8, v8, 0, 13
	v_cvt_f32_f16_e32 v10, v10
	v_lshrrev_b32_e32 v15, v8, v4
	v_lshlrev_b32_e32 v8, v8, v15
	v_cmp_ne_u32_e32 vcc, v8, v4
	v_cndmask_b32_e64 v4, 0, 1, vcc
	v_add_u32_e32 v6, 0xfffffc10, v6
	v_cvt_f64_f32_e32 v[25:26], v10
	v_or_b32_e32 v4, v15, v4
	v_lshl_or_b32 v8, v6, 12, v0
	v_cmp_gt_i32_e32 vcc, 1, v6
	v_cndmask_b32_e32 v4, v8, v4, vcc
	v_and_b32_e32 v8, 7, v4
	v_cmp_lt_i32_e32 vcc, 5, v8
	v_cmp_eq_u32_e64 s[2:3], 3, v8
	v_mul_f64 v[25:26], v[25:26], s[6:7]
	v_lshrrev_b32_e32 v4, 2, v4
	s_or_b64 vcc, s[2:3], vcc
	v_addc_co_u32_e32 v4, vcc, 0, v4, vcc
	v_cmp_gt_i32_e32 vcc, 31, v6
	v_cndmask_b32_e32 v4, v20, v4, vcc
	v_cmp_ne_u32_e32 vcc, 0, v0
	v_cndmask_b32_e64 v0, 0, 1, vcc
	v_lshl_or_b32 v0, v0, 9, v20
	v_cmp_eq_u32_e32 vcc, s15, v6
	v_cndmask_b32_e32 v0, v4, v0, vcc
	v_lshrrev_b32_e32 v4, 16, v24
	v_and_or_b32 v0, v4, s16, v0
	v_and_or_b32 v4, v26, s17, v25
	v_cmp_ne_u32_e32 vcc, 0, v4
	v_cndmask_b32_e64 v4, 0, 1, vcc
	v_lshrrev_b32_e32 v6, 8, v26
	v_bfe_u32 v8, v26, 20, 11
	v_and_or_b32 v4, v6, s14, v4
	v_sub_u32_e32 v10, 0x3f1, v8
	v_or_b32_e32 v6, 0x1000, v4
	v_med3_i32 v10, v10, 0, 13
	v_lshrrev_b32_e32 v12, v10, v6
	v_lshlrev_b32_e32 v10, v10, v12
	v_cmp_ne_u32_e32 vcc, v10, v6
	ds_read2_b32 v[14:15], v14 offset0:39 offset1:129
	v_cndmask_b32_e64 v6, 0, 1, vcc
	v_add_u32_e32 v8, 0xfffffc10, v8
	v_or_b32_e32 v6, v12, v6
	v_lshl_or_b32 v10, v8, 12, v4
	v_cmp_gt_i32_e32 vcc, 1, v8
	v_cndmask_b32_e32 v6, v10, v6, vcc
	v_and_b32_e32 v10, 7, v6
	v_cmp_lt_i32_e32 vcc, 5, v10
	v_cmp_eq_u32_e64 s[2:3], 3, v10
	s_waitcnt lgkmcnt(0)
	v_lshrrev_b32_e32 v10, 16, v14
	v_mul_f16_sdwa v12, v122, v10 dst_sel:DWORD dst_unused:UNUSED_PAD src0_sel:WORD_1 src1_sel:DWORD
	v_fma_f16 v12, v122, v14, v12
	v_cvt_f32_f16_e32 v12, v12
	v_lshrrev_b32_e32 v6, 2, v6
	s_or_b64 vcc, s[2:3], vcc
	v_addc_co_u32_e32 v6, vcc, 0, v6, vcc
	v_cvt_f64_f32_e32 v[23:24], v12
	v_cmp_gt_i32_e32 vcc, 31, v8
	v_cndmask_b32_e32 v6, v20, v6, vcc
	v_cmp_ne_u32_e32 vcc, 0, v4
	v_mul_f64 v[23:24], v[23:24], s[6:7]
	v_cndmask_b32_e64 v4, 0, 1, vcc
	v_lshl_or_b32 v4, v4, 9, v20
	v_cmp_eq_u32_e32 vcc, s15, v8
	v_cndmask_b32_e32 v4, v6, v4, vcc
	v_lshrrev_b32_e32 v6, 16, v26
	v_and_or_b32 v4, v6, s16, v4
	v_and_b32_e32 v0, 0xffff, v0
	v_add_co_u32_e32 v21, vcc, s10, v21
	v_lshl_or_b32 v0, v4, 16, v0
	v_addc_co_u32_e32 v22, vcc, v22, v2, vcc
	global_store_dword v[21:22], v0, off
	v_and_or_b32 v0, v24, s17, v23
	v_cmp_ne_u32_e32 vcc, 0, v0
	v_cndmask_b32_e64 v0, 0, 1, vcc
	v_lshrrev_b32_e32 v4, 8, v24
	v_bfe_u32 v6, v24, 20, 11
	v_and_or_b32 v0, v4, s14, v0
	v_sub_u32_e32 v8, 0x3f1, v6
	v_or_b32_e32 v4, 0x1000, v0
	v_med3_i32 v8, v8, 0, 13
	v_lshrrev_b32_e32 v12, v8, v4
	v_lshlrev_b32_e32 v8, v8, v12
	v_cmp_ne_u32_e32 vcc, v8, v4
	v_cndmask_b32_e64 v4, 0, 1, vcc
	v_or_b32_e32 v4, v12, v4
	v_mul_f16_sdwa v12, v122, v14 dst_sel:DWORD dst_unused:UNUSED_PAD src0_sel:WORD_1 src1_sel:DWORD
	v_fma_f16 v10, v122, v10, -v12
	v_cvt_f32_f16_e32 v10, v10
	v_add_u32_e32 v6, 0xfffffc10, v6
	v_lshl_or_b32 v8, v6, 12, v0
	v_cmp_gt_i32_e32 vcc, 1, v6
	v_cvt_f64_f32_e32 v[25:26], v10
	v_cndmask_b32_e32 v4, v8, v4, vcc
	v_and_b32_e32 v8, 7, v4
	v_cmp_lt_i32_e32 vcc, 5, v8
	v_cmp_eq_u32_e64 s[2:3], 3, v8
	v_mul_f64 v[25:26], v[25:26], s[6:7]
	v_lshrrev_b32_e32 v4, 2, v4
	s_or_b64 vcc, s[2:3], vcc
	v_addc_co_u32_e32 v4, vcc, 0, v4, vcc
	v_cmp_gt_i32_e32 vcc, 31, v6
	v_cndmask_b32_e32 v4, v20, v4, vcc
	v_cmp_ne_u32_e32 vcc, 0, v0
	v_cndmask_b32_e64 v0, 0, 1, vcc
	v_lshl_or_b32 v0, v0, 9, v20
	v_cmp_eq_u32_e32 vcc, s15, v6
	v_cndmask_b32_e32 v0, v4, v0, vcc
	v_lshrrev_b32_e32 v4, 16, v24
	v_and_or_b32 v0, v4, s16, v0
	v_and_or_b32 v4, v26, s17, v25
	v_cmp_ne_u32_e32 vcc, 0, v4
	v_cndmask_b32_e64 v4, 0, 1, vcc
	v_lshrrev_b32_e32 v6, 8, v26
	v_bfe_u32 v8, v26, 20, 11
	v_and_or_b32 v4, v6, s14, v4
	v_sub_u32_e32 v10, 0x3f1, v8
	v_or_b32_e32 v6, 0x1000, v4
	v_med3_i32 v10, v10, 0, 13
	v_lshrrev_b32_e32 v12, v10, v6
	v_lshlrev_b32_e32 v10, v10, v12
	v_cmp_ne_u32_e32 vcc, v10, v6
	ds_read2_b32 v[16:17], v16 offset0:8 offset1:98
	v_cndmask_b32_e64 v6, 0, 1, vcc
	v_add_u32_e32 v8, 0xfffffc10, v8
	v_or_b32_e32 v6, v12, v6
	v_lshl_or_b32 v10, v8, 12, v4
	v_cmp_gt_i32_e32 vcc, 1, v8
	v_cndmask_b32_e32 v6, v10, v6, vcc
	v_and_b32_e32 v10, 7, v6
	v_cmp_lt_i32_e32 vcc, 5, v10
	v_cmp_eq_u32_e64 s[2:3], 3, v10
	s_waitcnt lgkmcnt(0)
	v_lshrrev_b32_e32 v10, 16, v16
	v_mul_f16_sdwa v12, v121, v10 dst_sel:DWORD dst_unused:UNUSED_PAD src0_sel:WORD_1 src1_sel:DWORD
	v_fma_f16 v12, v121, v16, v12
	v_cvt_f32_f16_e32 v12, v12
	v_lshrrev_b32_e32 v6, 2, v6
	s_or_b64 vcc, s[2:3], vcc
	v_addc_co_u32_e32 v6, vcc, 0, v6, vcc
	v_cvt_f64_f32_e32 v[23:24], v12
	v_cmp_gt_i32_e32 vcc, 31, v8
	v_cndmask_b32_e32 v6, v20, v6, vcc
	v_cmp_ne_u32_e32 vcc, 0, v4
	v_mul_f64 v[23:24], v[23:24], s[6:7]
	v_cndmask_b32_e64 v4, 0, 1, vcc
	v_lshl_or_b32 v4, v4, 9, v20
	v_cmp_eq_u32_e32 vcc, s15, v8
	v_cndmask_b32_e32 v4, v6, v4, vcc
	v_lshrrev_b32_e32 v6, 16, v26
	v_and_or_b32 v4, v6, s16, v4
	v_and_b32_e32 v0, 0xffff, v0
	v_add_co_u32_e32 v21, vcc, s10, v21
	v_lshl_or_b32 v0, v4, 16, v0
	v_addc_co_u32_e32 v22, vcc, v22, v2, vcc
	global_store_dword v[21:22], v0, off
	v_and_or_b32 v0, v24, s17, v23
	v_cmp_ne_u32_e32 vcc, 0, v0
	v_cndmask_b32_e64 v0, 0, 1, vcc
	v_lshrrev_b32_e32 v4, 8, v24
	v_bfe_u32 v6, v24, 20, 11
	v_and_or_b32 v0, v4, s14, v0
	v_sub_u32_e32 v8, 0x3f1, v6
	v_or_b32_e32 v4, 0x1000, v0
	v_med3_i32 v8, v8, 0, 13
	v_lshrrev_b32_e32 v12, v8, v4
	v_lshlrev_b32_e32 v8, v8, v12
	v_cmp_ne_u32_e32 vcc, v8, v4
	v_cndmask_b32_e64 v4, 0, 1, vcc
	v_or_b32_e32 v4, v12, v4
	v_mul_f16_sdwa v12, v121, v16 dst_sel:DWORD dst_unused:UNUSED_PAD src0_sel:WORD_1 src1_sel:DWORD
	v_fma_f16 v10, v121, v10, -v12
	v_cvt_f32_f16_e32 v10, v10
	v_add_u32_e32 v6, 0xfffffc10, v6
	v_lshl_or_b32 v8, v6, 12, v0
	v_cmp_gt_i32_e32 vcc, 1, v6
	v_cvt_f64_f32_e32 v[25:26], v10
	v_cndmask_b32_e32 v4, v8, v4, vcc
	v_and_b32_e32 v8, 7, v4
	v_cmp_lt_i32_e32 vcc, 5, v8
	v_cmp_eq_u32_e64 s[2:3], 3, v8
	v_mul_f64 v[25:26], v[25:26], s[6:7]
	v_lshrrev_b32_e32 v4, 2, v4
	s_or_b64 vcc, s[2:3], vcc
	v_addc_co_u32_e32 v4, vcc, 0, v4, vcc
	v_cmp_gt_i32_e32 vcc, 31, v6
	v_cndmask_b32_e32 v4, v20, v4, vcc
	v_cmp_ne_u32_e32 vcc, 0, v0
	v_cndmask_b32_e64 v0, 0, 1, vcc
	v_lshl_or_b32 v0, v0, 9, v20
	v_cmp_eq_u32_e32 vcc, s15, v6
	v_cndmask_b32_e32 v0, v4, v0, vcc
	v_lshrrev_b32_e32 v4, 16, v24
	v_and_or_b32 v0, v4, s16, v0
	v_and_or_b32 v4, v26, s17, v25
	v_cmp_ne_u32_e32 vcc, 0, v4
	v_cndmask_b32_e64 v4, 0, 1, vcc
	v_lshrrev_b32_e32 v6, 8, v26
	v_bfe_u32 v8, v26, 20, 11
	v_and_or_b32 v4, v6, s14, v4
	v_sub_u32_e32 v10, 0x3f1, v8
	v_or_b32_e32 v6, 0x1000, v4
	v_med3_i32 v10, v10, 0, 13
	v_lshrrev_b32_e32 v12, v10, v6
	v_lshlrev_b32_e32 v10, v10, v12
	v_cmp_ne_u32_e32 vcc, v10, v6
	ds_read2_b32 v[18:19], v18 offset0:105 offset1:195
	v_cndmask_b32_e64 v6, 0, 1, vcc
	v_add_u32_e32 v8, 0xfffffc10, v8
	v_or_b32_e32 v6, v12, v6
	v_lshl_or_b32 v10, v8, 12, v4
	v_cmp_gt_i32_e32 vcc, 1, v8
	v_cndmask_b32_e32 v6, v10, v6, vcc
	v_and_b32_e32 v10, 7, v6
	v_cmp_lt_i32_e32 vcc, 5, v10
	v_cmp_eq_u32_e64 s[2:3], 3, v10
	s_waitcnt lgkmcnt(0)
	v_lshrrev_b32_e32 v10, 16, v18
	v_mul_f16_sdwa v12, v120, v10 dst_sel:DWORD dst_unused:UNUSED_PAD src0_sel:WORD_1 src1_sel:DWORD
	v_fma_f16 v12, v120, v18, v12
	v_cvt_f32_f16_e32 v12, v12
	v_lshrrev_b32_e32 v6, 2, v6
	s_or_b64 vcc, s[2:3], vcc
	v_addc_co_u32_e32 v6, vcc, 0, v6, vcc
	v_cvt_f64_f32_e32 v[23:24], v12
	v_cmp_gt_i32_e32 vcc, 31, v8
	v_cndmask_b32_e32 v6, v20, v6, vcc
	v_cmp_ne_u32_e32 vcc, 0, v4
	v_mul_f64 v[23:24], v[23:24], s[6:7]
	v_cndmask_b32_e64 v4, 0, 1, vcc
	v_lshl_or_b32 v4, v4, 9, v20
	v_cmp_eq_u32_e32 vcc, s15, v8
	v_cndmask_b32_e32 v4, v6, v4, vcc
	v_lshrrev_b32_e32 v6, 16, v26
	v_and_or_b32 v4, v6, s16, v4
	v_and_b32_e32 v0, 0xffff, v0
	v_add_co_u32_e32 v21, vcc, s10, v21
	v_lshl_or_b32 v0, v4, 16, v0
	v_addc_co_u32_e32 v22, vcc, v22, v2, vcc
	global_store_dword v[21:22], v0, off
	v_and_or_b32 v0, v24, s17, v23
	v_cmp_ne_u32_e32 vcc, 0, v0
	v_cndmask_b32_e64 v0, 0, 1, vcc
	v_lshrrev_b32_e32 v4, 8, v24
	v_bfe_u32 v6, v24, 20, 11
	v_and_or_b32 v0, v4, s14, v0
	v_sub_u32_e32 v8, 0x3f1, v6
	v_or_b32_e32 v4, 0x1000, v0
	v_med3_i32 v8, v8, 0, 13
	v_lshrrev_b32_e32 v12, v8, v4
	v_lshlrev_b32_e32 v8, v8, v12
	v_cmp_ne_u32_e32 vcc, v8, v4
	v_cndmask_b32_e64 v4, 0, 1, vcc
	v_or_b32_e32 v4, v12, v4
	v_mul_f16_sdwa v12, v120, v18 dst_sel:DWORD dst_unused:UNUSED_PAD src0_sel:WORD_1 src1_sel:DWORD
	v_fma_f16 v10, v120, v10, -v12
	v_cvt_f32_f16_e32 v10, v10
	v_add_u32_e32 v6, 0xfffffc10, v6
	v_lshl_or_b32 v8, v6, 12, v0
	v_cmp_gt_i32_e32 vcc, 1, v6
	v_cvt_f64_f32_e32 v[25:26], v10
	v_cndmask_b32_e32 v4, v8, v4, vcc
	v_and_b32_e32 v8, 7, v4
	v_cmp_lt_i32_e32 vcc, 5, v8
	v_cmp_eq_u32_e64 s[2:3], 3, v8
	v_mul_f64 v[25:26], v[25:26], s[6:7]
	v_lshrrev_b32_e32 v4, 2, v4
	s_or_b64 vcc, s[2:3], vcc
	v_addc_co_u32_e32 v4, vcc, 0, v4, vcc
	v_cmp_gt_i32_e32 vcc, 31, v6
	v_cndmask_b32_e32 v4, v20, v4, vcc
	v_cmp_ne_u32_e32 vcc, 0, v0
	v_cndmask_b32_e64 v0, 0, 1, vcc
	v_lshl_or_b32 v0, v0, 9, v20
	v_cmp_eq_u32_e32 vcc, s15, v6
	v_cndmask_b32_e32 v0, v4, v0, vcc
	v_lshrrev_b32_e32 v4, 16, v24
	v_and_or_b32 v0, v4, s16, v0
	v_and_or_b32 v4, v26, s17, v25
	v_cmp_ne_u32_e32 vcc, 0, v4
	v_cndmask_b32_e64 v4, 0, 1, vcc
	v_lshrrev_b32_e32 v6, 8, v26
	v_bfe_u32 v8, v26, 20, 11
	v_and_or_b32 v4, v6, s14, v4
	v_sub_u32_e32 v10, 0x3f1, v8
	v_or_b32_e32 v6, 0x1000, v4
	v_med3_i32 v10, v10, 0, 13
	v_lshrrev_b32_e32 v12, v10, v6
	v_lshlrev_b32_e32 v10, v10, v12
	v_cmp_ne_u32_e32 vcc, v10, v6
	v_cndmask_b32_e64 v6, 0, 1, vcc
	v_add_u32_e32 v8, 0xfffffc10, v8
	v_or_b32_e32 v6, v12, v6
	v_lshl_or_b32 v10, v8, 12, v4
	v_cmp_gt_i32_e32 vcc, 1, v8
	v_cndmask_b32_e32 v6, v10, v6, vcc
	v_and_b32_e32 v10, 7, v6
	v_cmp_lt_i32_e32 vcc, 5, v10
	v_cmp_eq_u32_e64 s[2:3], 3, v10
	v_lshrrev_b32_e32 v10, 16, v1
	v_mul_f16_sdwa v12, v119, v10 dst_sel:DWORD dst_unused:UNUSED_PAD src0_sel:WORD_1 src1_sel:DWORD
	v_fma_f16 v12, v119, v1, v12
	v_cvt_f32_f16_e32 v12, v12
	v_lshrrev_b32_e32 v6, 2, v6
	s_or_b64 vcc, s[2:3], vcc
	v_addc_co_u32_e32 v6, vcc, 0, v6, vcc
	v_cvt_f64_f32_e32 v[23:24], v12
	v_cmp_gt_i32_e32 vcc, 31, v8
	v_cndmask_b32_e32 v6, v20, v6, vcc
	v_cmp_ne_u32_e32 vcc, 0, v4
	v_mul_f64 v[23:24], v[23:24], s[6:7]
	v_cndmask_b32_e64 v4, 0, 1, vcc
	v_lshl_or_b32 v4, v4, 9, v20
	v_cmp_eq_u32_e32 vcc, s15, v8
	v_cndmask_b32_e32 v4, v6, v4, vcc
	v_lshrrev_b32_e32 v6, 16, v26
	v_and_or_b32 v4, v6, s16, v4
	v_and_b32_e32 v0, 0xffff, v0
	v_add_co_u32_e32 v21, vcc, s10, v21
	v_lshl_or_b32 v0, v4, 16, v0
	v_addc_co_u32_e32 v22, vcc, v22, v2, vcc
	global_store_dword v[21:22], v0, off
	v_and_or_b32 v0, v24, s17, v23
	v_cmp_ne_u32_e32 vcc, 0, v0
	v_cndmask_b32_e64 v0, 0, 1, vcc
	v_lshrrev_b32_e32 v4, 8, v24
	v_bfe_u32 v6, v24, 20, 11
	v_and_or_b32 v4, v4, s14, v0
	v_sub_u32_e32 v8, 0x3f1, v6
	v_or_b32_e32 v0, 0x1000, v4
	v_med3_i32 v8, v8, 0, 13
	v_lshrrev_b32_e32 v12, v8, v0
	v_lshlrev_b32_e32 v8, v8, v12
	v_mul_f16_sdwa v1, v119, v1 dst_sel:DWORD dst_unused:UNUSED_PAD src0_sel:WORD_1 src1_sel:DWORD
	v_cmp_ne_u32_e32 vcc, v8, v0
	v_fma_f16 v1, v119, v10, -v1
	v_cndmask_b32_e64 v0, 0, 1, vcc
	v_add_u32_e32 v6, 0xfffffc10, v6
	v_cvt_f32_f16_e32 v1, v1
	v_or_b32_e32 v0, v12, v0
	v_lshl_or_b32 v8, v6, 12, v4
	v_cmp_gt_i32_e32 vcc, 1, v6
	v_cndmask_b32_e32 v0, v8, v0, vcc
	v_and_b32_e32 v8, 7, v0
	v_cmp_lt_i32_e32 vcc, 5, v8
	v_cmp_eq_u32_e64 s[2:3], 3, v8
	v_lshrrev_b32_e32 v8, 2, v0
	v_cvt_f64_f32_e32 v[0:1], v1
	s_or_b64 vcc, s[2:3], vcc
	v_addc_co_u32_e32 v8, vcc, 0, v8, vcc
	v_mul_f64 v[0:1], v[0:1], s[6:7]
	v_cmp_gt_i32_e32 vcc, 31, v6
	v_cndmask_b32_e32 v8, v20, v8, vcc
	v_cmp_ne_u32_e32 vcc, 0, v4
	v_cndmask_b32_e64 v4, 0, 1, vcc
	v_lshl_or_b32 v4, v4, 9, v20
	v_cmp_eq_u32_e32 vcc, s15, v6
	v_cndmask_b32_e32 v4, v8, v4, vcc
	v_and_or_b32 v0, v1, s17, v0
	v_lshrrev_b32_e32 v6, 16, v24
	v_cmp_ne_u32_e32 vcc, 0, v0
	v_and_or_b32 v4, v6, s16, v4
	v_cndmask_b32_e64 v0, 0, 1, vcc
	v_lshrrev_b32_e32 v6, 8, v1
	v_bfe_u32 v8, v1, 20, 11
	v_and_or_b32 v0, v6, s14, v0
	v_sub_u32_e32 v10, 0x3f1, v8
	v_or_b32_e32 v6, 0x1000, v0
	v_med3_i32 v10, v10, 0, 13
	v_lshrrev_b32_e32 v12, v10, v6
	v_lshlrev_b32_e32 v10, v10, v12
	v_cmp_ne_u32_e32 vcc, v10, v6
	v_cndmask_b32_e64 v6, 0, 1, vcc
	v_add_u32_e32 v8, 0xfffffc10, v8
	v_or_b32_e32 v6, v12, v6
	v_lshl_or_b32 v10, v8, 12, v0
	v_cmp_gt_i32_e32 vcc, 1, v8
	v_cndmask_b32_e32 v6, v10, v6, vcc
	v_and_b32_e32 v10, 7, v6
	v_cmp_lt_i32_e32 vcc, 5, v10
	v_cmp_eq_u32_e64 s[2:3], 3, v10
	v_lshrrev_b32_e32 v6, 2, v6
	s_or_b64 vcc, s[2:3], vcc
	v_addc_co_u32_e32 v6, vcc, 0, v6, vcc
	v_cmp_gt_i32_e32 vcc, 31, v8
	v_cndmask_b32_e32 v6, v20, v6, vcc
	v_cmp_ne_u32_e32 vcc, 0, v0
	v_cndmask_b32_e64 v0, 0, 1, vcc
	v_lshl_or_b32 v0, v0, 9, v20
	v_cmp_eq_u32_e32 vcc, s15, v8
	v_cndmask_b32_e32 v0, v6, v0, vcc
	v_lshrrev_b32_e32 v1, 16, v1
	v_lshrrev_b32_e32 v8, 16, v3
	v_and_or_b32 v6, v1, s16, v0
	v_mul_f16_sdwa v0, v118, v8 dst_sel:DWORD dst_unused:UNUSED_PAD src0_sel:WORD_1 src1_sel:DWORD
	v_fma_f16 v0, v118, v3, v0
	v_cvt_f32_f16_e32 v0, v0
	s_mul_hi_u32 s3, s8, 0xfffff871
	s_mul_i32 s2, s9, 0xfffff871
	s_sub_i32 s3, s3, s8
	v_cvt_f64_f32_e32 v[0:1], v0
	s_add_i32 s3, s3, s2
	s_mul_i32 s2, s8, 0xfffff871
	v_and_b32_e32 v4, 0xffff, v4
	v_mul_f64 v[0:1], v[0:1], s[6:7]
	s_lshl_b64 s[4:5], s[2:3], 2
	v_lshl_or_b32 v4, v6, 16, v4
	v_mov_b32_e32 v6, s5
	v_add_co_u32_e32 v21, vcc, s4, v21
	v_addc_co_u32_e32 v22, vcc, v22, v6, vcc
	v_and_or_b32 v0, v1, s17, v0
	v_cmp_ne_u32_e32 vcc, 0, v0
	global_store_dword v[21:22], v4, off
	v_cndmask_b32_e64 v0, 0, 1, vcc
	v_lshrrev_b32_e32 v4, 8, v1
	v_bfe_u32 v6, v1, 20, 11
	v_and_or_b32 v0, v4, s14, v0
	v_sub_u32_e32 v10, 0x3f1, v6
	v_or_b32_e32 v4, 0x1000, v0
	v_med3_i32 v10, v10, 0, 13
	v_lshrrev_b32_e32 v12, v10, v4
	v_mul_f16_sdwa v3, v118, v3 dst_sel:DWORD dst_unused:UNUSED_PAD src0_sel:WORD_1 src1_sel:DWORD
	v_lshlrev_b32_e32 v10, v10, v12
	v_fma_f16 v3, v118, v8, -v3
	v_cmp_ne_u32_e32 vcc, v10, v4
	v_cvt_f32_f16_e32 v3, v3
	v_cndmask_b32_e64 v4, 0, 1, vcc
	v_add_u32_e32 v6, 0xfffffc10, v6
	v_or_b32_e32 v4, v12, v4
	v_lshl_or_b32 v10, v6, 12, v0
	v_cmp_gt_i32_e32 vcc, 1, v6
	v_cndmask_b32_e32 v4, v10, v4, vcc
	v_and_b32_e32 v10, 7, v4
	v_lshrrev_b32_e32 v8, 2, v4
	v_cvt_f64_f32_e32 v[3:4], v3
	v_cmp_lt_i32_e32 vcc, 5, v10
	v_cmp_eq_u32_e64 s[2:3], 3, v10
	s_or_b64 vcc, s[2:3], vcc
	v_mul_f64 v[3:4], v[3:4], s[6:7]
	v_addc_co_u32_e32 v8, vcc, 0, v8, vcc
	v_cmp_gt_i32_e32 vcc, 31, v6
	v_cndmask_b32_e32 v8, v20, v8, vcc
	v_cmp_ne_u32_e32 vcc, 0, v0
	v_cndmask_b32_e64 v0, 0, 1, vcc
	v_lshl_or_b32 v0, v0, 9, v20
	v_cmp_eq_u32_e32 vcc, s15, v6
	v_cndmask_b32_e32 v0, v8, v0, vcc
	v_lshrrev_b32_e32 v1, 16, v1
	v_and_or_b32 v6, v1, s16, v0
	v_and_or_b32 v0, v4, s17, v3
	v_cmp_ne_u32_e32 vcc, 0, v0
	v_cndmask_b32_e64 v0, 0, 1, vcc
	v_lshrrev_b32_e32 v1, 8, v4
	v_bfe_u32 v3, v4, 20, 11
	v_and_or_b32 v0, v1, s14, v0
	v_sub_u32_e32 v8, 0x3f1, v3
	v_or_b32_e32 v1, 0x1000, v0
	v_med3_i32 v8, v8, 0, 13
	v_lshrrev_b32_e32 v10, v8, v1
	v_lshlrev_b32_e32 v8, v8, v10
	v_cmp_ne_u32_e32 vcc, v8, v1
	v_cndmask_b32_e64 v1, 0, 1, vcc
	v_add_u32_e32 v3, 0xfffffc10, v3
	v_or_b32_e32 v1, v10, v1
	v_lshl_or_b32 v8, v3, 12, v0
	v_cmp_gt_i32_e32 vcc, 1, v3
	v_cndmask_b32_e32 v1, v8, v1, vcc
	v_and_b32_e32 v8, 7, v1
	v_cmp_lt_i32_e32 vcc, 5, v8
	v_cmp_eq_u32_e64 s[2:3], 3, v8
	v_lshrrev_b32_e32 v1, 2, v1
	s_or_b64 vcc, s[2:3], vcc
	v_addc_co_u32_e32 v1, vcc, 0, v1, vcc
	v_cmp_gt_i32_e32 vcc, 31, v3
	v_lshrrev_b32_e32 v10, 16, v5
	v_cndmask_b32_e32 v8, v20, v1, vcc
	v_mul_f16_sdwa v1, v117, v10 dst_sel:DWORD dst_unused:UNUSED_PAD src0_sel:WORD_1 src1_sel:DWORD
	v_fma_f16 v1, v117, v5, v1
	v_cvt_f32_f16_e32 v1, v1
	v_cmp_ne_u32_e32 vcc, 0, v0
	v_cndmask_b32_e64 v0, 0, 1, vcc
	v_lshl_or_b32 v12, v0, 9, v20
	v_cvt_f64_f32_e32 v[0:1], v1
	v_cmp_eq_u32_e32 vcc, s15, v3
	v_cndmask_b32_e32 v3, v8, v12, vcc
	v_lshrrev_b32_e32 v4, 16, v4
	v_mul_f64 v[0:1], v[0:1], s[6:7]
	v_and_or_b32 v3, v4, s16, v3
	v_and_b32_e32 v4, 0xffff, v6
	v_lshl_or_b32 v6, v3, 16, v4
	v_add_co_u32_e32 v3, vcc, s10, v21
	v_addc_co_u32_e32 v4, vcc, v22, v2, vcc
	v_and_or_b32 v0, v1, s17, v0
	v_cmp_ne_u32_e32 vcc, 0, v0
	global_store_dword v[3:4], v6, off
	v_cndmask_b32_e64 v0, 0, 1, vcc
	v_lshrrev_b32_e32 v6, 8, v1
	v_bfe_u32 v8, v1, 20, 11
	v_and_or_b32 v0, v6, s14, v0
	v_sub_u32_e32 v12, 0x3f1, v8
	v_or_b32_e32 v6, 0x1000, v0
	v_med3_i32 v12, v12, 0, 13
	v_lshrrev_b32_e32 v14, v12, v6
	v_mul_f16_sdwa v5, v117, v5 dst_sel:DWORD dst_unused:UNUSED_PAD src0_sel:WORD_1 src1_sel:DWORD
	v_lshlrev_b32_e32 v12, v12, v14
	v_fma_f16 v5, v117, v10, -v5
	v_cmp_ne_u32_e32 vcc, v12, v6
	v_cvt_f32_f16_e32 v5, v5
	v_cndmask_b32_e64 v6, 0, 1, vcc
	v_add_u32_e32 v8, 0xfffffc10, v8
	v_or_b32_e32 v6, v14, v6
	v_lshl_or_b32 v12, v8, 12, v0
	v_cmp_gt_i32_e32 vcc, 1, v8
	v_cndmask_b32_e32 v6, v12, v6, vcc
	v_and_b32_e32 v12, 7, v6
	v_lshrrev_b32_e32 v10, 2, v6
	v_cvt_f64_f32_e32 v[5:6], v5
	v_cmp_lt_i32_e32 vcc, 5, v12
	v_cmp_eq_u32_e64 s[2:3], 3, v12
	s_or_b64 vcc, s[2:3], vcc
	v_mul_f64 v[5:6], v[5:6], s[6:7]
	v_addc_co_u32_e32 v10, vcc, 0, v10, vcc
	v_cmp_gt_i32_e32 vcc, 31, v8
	v_cndmask_b32_e32 v10, v20, v10, vcc
	v_cmp_ne_u32_e32 vcc, 0, v0
	v_cndmask_b32_e64 v0, 0, 1, vcc
	v_lshl_or_b32 v0, v0, 9, v20
	v_cmp_eq_u32_e32 vcc, s15, v8
	v_cndmask_b32_e32 v0, v10, v0, vcc
	v_lshrrev_b32_e32 v1, 16, v1
	v_and_or_b32 v8, v1, s16, v0
	v_and_or_b32 v0, v6, s17, v5
	v_cmp_ne_u32_e32 vcc, 0, v0
	v_cndmask_b32_e64 v0, 0, 1, vcc
	v_lshrrev_b32_e32 v1, 8, v6
	v_bfe_u32 v5, v6, 20, 11
	v_and_or_b32 v0, v1, s14, v0
	v_sub_u32_e32 v10, 0x3f1, v5
	v_or_b32_e32 v1, 0x1000, v0
	v_med3_i32 v10, v10, 0, 13
	v_lshrrev_b32_e32 v12, v10, v1
	v_lshlrev_b32_e32 v10, v10, v12
	v_cmp_ne_u32_e32 vcc, v10, v1
	v_cndmask_b32_e64 v1, 0, 1, vcc
	v_add_u32_e32 v5, 0xfffffc10, v5
	v_or_b32_e32 v1, v12, v1
	v_lshl_or_b32 v10, v5, 12, v0
	v_cmp_gt_i32_e32 vcc, 1, v5
	v_cndmask_b32_e32 v1, v10, v1, vcc
	v_and_b32_e32 v10, 7, v1
	v_cmp_lt_i32_e32 vcc, 5, v10
	v_cmp_eq_u32_e64 s[2:3], 3, v10
	v_lshrrev_b32_e32 v1, 2, v1
	s_or_b64 vcc, s[2:3], vcc
	v_addc_co_u32_e32 v1, vcc, 0, v1, vcc
	v_cmp_gt_i32_e32 vcc, 31, v5
	v_lshrrev_b32_e32 v12, 16, v7
	v_cndmask_b32_e32 v10, v20, v1, vcc
	v_mul_f16_sdwa v1, v116, v12 dst_sel:DWORD dst_unused:UNUSED_PAD src0_sel:WORD_1 src1_sel:DWORD
	v_fma_f16 v1, v116, v7, v1
	v_cvt_f32_f16_e32 v1, v1
	v_cmp_ne_u32_e32 vcc, 0, v0
	v_cndmask_b32_e64 v0, 0, 1, vcc
	v_lshl_or_b32 v14, v0, 9, v20
	v_cvt_f64_f32_e32 v[0:1], v1
	v_cmp_eq_u32_e32 vcc, s15, v5
	v_cndmask_b32_e32 v5, v10, v14, vcc
	v_lshrrev_b32_e32 v6, 16, v6
	v_mul_f64 v[0:1], v[0:1], s[6:7]
	v_add_co_u32_e32 v3, vcc, s10, v3
	v_and_or_b32 v5, v6, s16, v5
	v_and_b32_e32 v6, 0xffff, v8
	v_addc_co_u32_e32 v4, vcc, v4, v2, vcc
	v_lshl_or_b32 v5, v5, 16, v6
	v_and_or_b32 v0, v1, s17, v0
	v_cmp_ne_u32_e32 vcc, 0, v0
	global_store_dword v[3:4], v5, off
	v_cndmask_b32_e64 v0, 0, 1, vcc
	v_lshrrev_b32_e32 v5, 8, v1
	v_bfe_u32 v6, v1, 20, 11
	v_and_or_b32 v0, v5, s14, v0
	v_sub_u32_e32 v8, 0x3f1, v6
	v_or_b32_e32 v5, 0x1000, v0
	v_med3_i32 v8, v8, 0, 13
	v_lshrrev_b32_e32 v10, v8, v5
	v_lshlrev_b32_e32 v8, v8, v10
	v_mul_f16_sdwa v7, v116, v7 dst_sel:DWORD dst_unused:UNUSED_PAD src0_sel:WORD_1 src1_sel:DWORD
	v_cmp_ne_u32_e32 vcc, v8, v5
	v_fma_f16 v7, v116, v12, -v7
	v_cndmask_b32_e64 v5, 0, 1, vcc
	v_add_u32_e32 v8, 0xfffffc10, v6
	v_cvt_f32_f16_e32 v7, v7
	v_or_b32_e32 v5, v10, v5
	v_lshl_or_b32 v6, v8, 12, v0
	v_cmp_gt_i32_e32 vcc, 1, v8
	v_cndmask_b32_e32 v5, v6, v5, vcc
	v_and_b32_e32 v6, 7, v5
	v_cmp_lt_i32_e32 vcc, 5, v6
	v_cmp_eq_u32_e64 s[2:3], 3, v6
	v_lshrrev_b32_e32 v10, 2, v5
	v_cvt_f64_f32_e32 v[5:6], v7
	s_or_b64 vcc, s[2:3], vcc
	v_addc_co_u32_e32 v7, vcc, 0, v10, vcc
	v_mul_f64 v[5:6], v[5:6], s[6:7]
	v_cmp_gt_i32_e32 vcc, 31, v8
	v_cndmask_b32_e32 v7, v20, v7, vcc
	v_cmp_ne_u32_e32 vcc, 0, v0
	v_cndmask_b32_e64 v0, 0, 1, vcc
	v_lshl_or_b32 v0, v0, 9, v20
	v_cmp_eq_u32_e32 vcc, s15, v8
	v_cndmask_b32_e32 v0, v7, v0, vcc
	v_lshrrev_b32_e32 v1, 16, v1
	v_and_or_b32 v7, v1, s16, v0
	v_and_or_b32 v0, v6, s17, v5
	v_cmp_ne_u32_e32 vcc, 0, v0
	v_cndmask_b32_e64 v0, 0, 1, vcc
	v_lshrrev_b32_e32 v1, 8, v6
	v_bfe_u32 v5, v6, 20, 11
	v_and_or_b32 v0, v1, s14, v0
	v_sub_u32_e32 v8, 0x3f1, v5
	v_or_b32_e32 v1, 0x1000, v0
	v_med3_i32 v8, v8, 0, 13
	v_lshrrev_b32_e32 v10, v8, v1
	v_lshlrev_b32_e32 v8, v8, v10
	v_cmp_ne_u32_e32 vcc, v8, v1
	v_cndmask_b32_e64 v1, 0, 1, vcc
	v_add_u32_e32 v5, 0xfffffc10, v5
	v_or_b32_e32 v1, v10, v1
	v_lshl_or_b32 v8, v5, 12, v0
	v_cmp_gt_i32_e32 vcc, 1, v5
	v_cndmask_b32_e32 v1, v8, v1, vcc
	v_and_b32_e32 v8, 7, v1
	v_cmp_lt_i32_e32 vcc, 5, v8
	v_cmp_eq_u32_e64 s[2:3], 3, v8
	v_lshrrev_b32_e32 v1, 2, v1
	s_or_b64 vcc, s[2:3], vcc
	v_addc_co_u32_e32 v1, vcc, 0, v1, vcc
	v_cmp_gt_i32_e32 vcc, 31, v5
	v_lshrrev_b32_e32 v10, 16, v9
	v_cndmask_b32_e32 v8, v20, v1, vcc
	v_mul_f16_sdwa v1, v115, v10 dst_sel:DWORD dst_unused:UNUSED_PAD src0_sel:WORD_1 src1_sel:DWORD
	v_fma_f16 v1, v115, v9, v1
	v_cvt_f32_f16_e32 v1, v1
	v_cmp_ne_u32_e32 vcc, 0, v0
	v_cndmask_b32_e64 v0, 0, 1, vcc
	v_lshl_or_b32 v12, v0, 9, v20
	v_cvt_f64_f32_e32 v[0:1], v1
	v_cmp_eq_u32_e32 vcc, s15, v5
	v_cndmask_b32_e32 v5, v8, v12, vcc
	v_lshrrev_b32_e32 v6, 16, v6
	v_mul_f64 v[0:1], v[0:1], s[6:7]
	v_add_co_u32_e32 v3, vcc, s10, v3
	v_and_or_b32 v5, v6, s16, v5
	v_and_b32_e32 v6, 0xffff, v7
	v_addc_co_u32_e32 v4, vcc, v4, v2, vcc
	v_lshl_or_b32 v5, v5, 16, v6
	v_and_or_b32 v0, v1, s17, v0
	v_cmp_ne_u32_e32 vcc, 0, v0
	global_store_dword v[3:4], v5, off
	v_cndmask_b32_e64 v0, 0, 1, vcc
	v_lshrrev_b32_e32 v5, 8, v1
	v_bfe_u32 v6, v1, 20, 11
	v_and_or_b32 v0, v5, s14, v0
	v_sub_u32_e32 v7, 0x3f1, v6
	v_or_b32_e32 v5, 0x1000, v0
	v_med3_i32 v7, v7, 0, 13
	v_lshrrev_b32_e32 v8, v7, v5
	v_lshlrev_b32_e32 v7, v7, v8
	v_cmp_ne_u32_e32 vcc, v7, v5
	v_cndmask_b32_e64 v5, 0, 1, vcc
	v_or_b32_e32 v5, v8, v5
	v_mul_f16_sdwa v8, v115, v9 dst_sel:DWORD dst_unused:UNUSED_PAD src0_sel:WORD_1 src1_sel:DWORD
	v_fma_f16 v8, v115, v10, -v8
	v_add_u32_e32 v7, 0xfffffc10, v6
	v_cvt_f32_f16_e32 v8, v8
	v_lshl_or_b32 v6, v7, 12, v0
	v_cmp_gt_i32_e32 vcc, 1, v7
	v_cndmask_b32_e32 v5, v6, v5, vcc
	v_and_b32_e32 v6, 7, v5
	v_cmp_lt_i32_e32 vcc, 5, v6
	v_cmp_eq_u32_e64 s[2:3], 3, v6
	v_lshrrev_b32_e32 v9, 2, v5
	v_cvt_f64_f32_e32 v[5:6], v8
	s_or_b64 vcc, s[2:3], vcc
	v_addc_co_u32_e32 v8, vcc, 0, v9, vcc
	v_mul_f64 v[5:6], v[5:6], s[6:7]
	v_cmp_gt_i32_e32 vcc, 31, v7
	v_cndmask_b32_e32 v8, v20, v8, vcc
	v_cmp_ne_u32_e32 vcc, 0, v0
	v_cndmask_b32_e64 v0, 0, 1, vcc
	v_lshl_or_b32 v0, v0, 9, v20
	v_cmp_eq_u32_e32 vcc, s15, v7
	v_cndmask_b32_e32 v0, v8, v0, vcc
	v_lshrrev_b32_e32 v1, 16, v1
	v_and_or_b32 v7, v1, s16, v0
	v_and_or_b32 v0, v6, s17, v5
	v_cmp_ne_u32_e32 vcc, 0, v0
	v_cndmask_b32_e64 v0, 0, 1, vcc
	v_lshrrev_b32_e32 v1, 8, v6
	v_bfe_u32 v5, v6, 20, 11
	v_and_or_b32 v0, v1, s14, v0
	v_sub_u32_e32 v8, 0x3f1, v5
	v_or_b32_e32 v1, 0x1000, v0
	v_med3_i32 v8, v8, 0, 13
	v_lshrrev_b32_e32 v9, v8, v1
	v_lshlrev_b32_e32 v8, v8, v9
	v_cmp_ne_u32_e32 vcc, v8, v1
	v_cndmask_b32_e64 v1, 0, 1, vcc
	v_add_u32_e32 v5, 0xfffffc10, v5
	v_or_b32_e32 v1, v9, v1
	v_lshl_or_b32 v8, v5, 12, v0
	v_cmp_gt_i32_e32 vcc, 1, v5
	v_cndmask_b32_e32 v1, v8, v1, vcc
	v_and_b32_e32 v8, 7, v1
	v_cmp_lt_i32_e32 vcc, 5, v8
	v_cmp_eq_u32_e64 s[2:3], 3, v8
	v_lshrrev_b32_e32 v1, 2, v1
	s_or_b64 vcc, s[2:3], vcc
	v_addc_co_u32_e32 v1, vcc, 0, v1, vcc
	v_cmp_gt_i32_e32 vcc, 31, v5
	v_lshrrev_b32_e32 v9, 16, v11
	v_cndmask_b32_e32 v8, v20, v1, vcc
	v_mul_f16_sdwa v1, v114, v9 dst_sel:DWORD dst_unused:UNUSED_PAD src0_sel:WORD_1 src1_sel:DWORD
	v_fma_f16 v1, v114, v11, v1
	v_cvt_f32_f16_e32 v1, v1
	v_cmp_ne_u32_e32 vcc, 0, v0
	v_cndmask_b32_e64 v0, 0, 1, vcc
	v_lshl_or_b32 v10, v0, 9, v20
	v_cvt_f64_f32_e32 v[0:1], v1
	v_cmp_eq_u32_e32 vcc, s15, v5
	v_cndmask_b32_e32 v5, v8, v10, vcc
	v_lshrrev_b32_e32 v6, 16, v6
	v_mul_f64 v[0:1], v[0:1], s[6:7]
	v_add_co_u32_e32 v3, vcc, s10, v3
	v_and_or_b32 v5, v6, s16, v5
	v_and_b32_e32 v6, 0xffff, v7
	v_addc_co_u32_e32 v4, vcc, v4, v2, vcc
	v_lshl_or_b32 v5, v5, 16, v6
	v_and_or_b32 v0, v1, s17, v0
	v_cmp_ne_u32_e32 vcc, 0, v0
	global_store_dword v[3:4], v5, off
	v_cndmask_b32_e64 v0, 0, 1, vcc
	v_lshrrev_b32_e32 v5, 8, v1
	v_bfe_u32 v6, v1, 20, 11
	v_and_or_b32 v0, v5, s14, v0
	v_sub_u32_e32 v7, 0x3f1, v6
	v_or_b32_e32 v5, 0x1000, v0
	v_med3_i32 v7, v7, 0, 13
	v_lshrrev_b32_e32 v8, v7, v5
	v_lshlrev_b32_e32 v7, v7, v8
	v_cmp_ne_u32_e32 vcc, v7, v5
	v_cndmask_b32_e64 v5, 0, 1, vcc
	v_or_b32_e32 v5, v8, v5
	v_mul_f16_sdwa v8, v114, v11 dst_sel:DWORD dst_unused:UNUSED_PAD src0_sel:WORD_1 src1_sel:DWORD
	v_fma_f16 v8, v114, v9, -v8
	v_add_u32_e32 v7, 0xfffffc10, v6
	v_cvt_f32_f16_e32 v8, v8
	v_lshl_or_b32 v6, v7, 12, v0
	v_cmp_gt_i32_e32 vcc, 1, v7
	v_cndmask_b32_e32 v5, v6, v5, vcc
	v_and_b32_e32 v6, 7, v5
	v_cmp_lt_i32_e32 vcc, 5, v6
	v_cmp_eq_u32_e64 s[2:3], 3, v6
	v_lshrrev_b32_e32 v9, 2, v5
	v_cvt_f64_f32_e32 v[5:6], v8
	s_or_b64 vcc, s[2:3], vcc
	v_addc_co_u32_e32 v8, vcc, 0, v9, vcc
	v_mul_f64 v[5:6], v[5:6], s[6:7]
	v_cmp_gt_i32_e32 vcc, 31, v7
	v_cndmask_b32_e32 v8, v20, v8, vcc
	v_cmp_ne_u32_e32 vcc, 0, v0
	v_cndmask_b32_e64 v0, 0, 1, vcc
	v_lshl_or_b32 v0, v0, 9, v20
	v_cmp_eq_u32_e32 vcc, s15, v7
	v_cndmask_b32_e32 v0, v8, v0, vcc
	v_lshrrev_b32_e32 v1, 16, v1
	v_and_or_b32 v7, v1, s16, v0
	v_and_or_b32 v0, v6, s17, v5
	v_cmp_ne_u32_e32 vcc, 0, v0
	v_cndmask_b32_e64 v0, 0, 1, vcc
	v_lshrrev_b32_e32 v1, 8, v6
	v_bfe_u32 v5, v6, 20, 11
	v_and_or_b32 v0, v1, s14, v0
	v_sub_u32_e32 v8, 0x3f1, v5
	v_or_b32_e32 v1, 0x1000, v0
	v_med3_i32 v8, v8, 0, 13
	v_lshrrev_b32_e32 v9, v8, v1
	v_lshlrev_b32_e32 v8, v8, v9
	v_cmp_ne_u32_e32 vcc, v8, v1
	v_cndmask_b32_e64 v1, 0, 1, vcc
	v_add_u32_e32 v5, 0xfffffc10, v5
	v_or_b32_e32 v1, v9, v1
	v_lshl_or_b32 v8, v5, 12, v0
	v_cmp_gt_i32_e32 vcc, 1, v5
	v_cndmask_b32_e32 v1, v8, v1, vcc
	v_and_b32_e32 v8, 7, v1
	v_cmp_lt_i32_e32 vcc, 5, v8
	v_cmp_eq_u32_e64 s[2:3], 3, v8
	v_lshrrev_b32_e32 v1, 2, v1
	s_or_b64 vcc, s[2:3], vcc
	v_addc_co_u32_e32 v1, vcc, 0, v1, vcc
	v_cmp_gt_i32_e32 vcc, 31, v5
	v_lshrrev_b32_e32 v9, 16, v13
	v_cndmask_b32_e32 v8, v20, v1, vcc
	v_mul_f16_sdwa v1, v113, v9 dst_sel:DWORD dst_unused:UNUSED_PAD src0_sel:WORD_1 src1_sel:DWORD
	v_fma_f16 v1, v113, v13, v1
	v_cvt_f32_f16_e32 v1, v1
	v_cmp_ne_u32_e32 vcc, 0, v0
	v_cndmask_b32_e64 v0, 0, 1, vcc
	v_lshl_or_b32 v10, v0, 9, v20
	v_cvt_f64_f32_e32 v[0:1], v1
	v_cmp_eq_u32_e32 vcc, s15, v5
	v_cndmask_b32_e32 v5, v8, v10, vcc
	v_lshrrev_b32_e32 v6, 16, v6
	v_mul_f64 v[0:1], v[0:1], s[6:7]
	v_add_co_u32_e32 v3, vcc, s10, v3
	v_and_or_b32 v5, v6, s16, v5
	v_and_b32_e32 v6, 0xffff, v7
	v_addc_co_u32_e32 v4, vcc, v4, v2, vcc
	v_lshl_or_b32 v5, v5, 16, v6
	v_and_or_b32 v0, v1, s17, v0
	v_cmp_ne_u32_e32 vcc, 0, v0
	global_store_dword v[3:4], v5, off
	v_cndmask_b32_e64 v0, 0, 1, vcc
	v_lshrrev_b32_e32 v5, 8, v1
	v_bfe_u32 v6, v1, 20, 11
	v_and_or_b32 v0, v5, s14, v0
	v_sub_u32_e32 v7, 0x3f1, v6
	v_or_b32_e32 v5, 0x1000, v0
	v_med3_i32 v7, v7, 0, 13
	v_lshrrev_b32_e32 v8, v7, v5
	v_lshlrev_b32_e32 v7, v7, v8
	v_cmp_ne_u32_e32 vcc, v7, v5
	v_cndmask_b32_e64 v5, 0, 1, vcc
	v_or_b32_e32 v5, v8, v5
	v_mul_f16_sdwa v8, v113, v13 dst_sel:DWORD dst_unused:UNUSED_PAD src0_sel:WORD_1 src1_sel:DWORD
	v_fma_f16 v8, v113, v9, -v8
	v_add_u32_e32 v7, 0xfffffc10, v6
	v_cvt_f32_f16_e32 v8, v8
	v_lshl_or_b32 v6, v7, 12, v0
	v_cmp_gt_i32_e32 vcc, 1, v7
	v_cndmask_b32_e32 v5, v6, v5, vcc
	v_and_b32_e32 v6, 7, v5
	v_cmp_lt_i32_e32 vcc, 5, v6
	v_cmp_eq_u32_e64 s[2:3], 3, v6
	v_lshrrev_b32_e32 v9, 2, v5
	v_cvt_f64_f32_e32 v[5:6], v8
	s_or_b64 vcc, s[2:3], vcc
	v_addc_co_u32_e32 v8, vcc, 0, v9, vcc
	v_mul_f64 v[5:6], v[5:6], s[6:7]
	v_cmp_gt_i32_e32 vcc, 31, v7
	v_cndmask_b32_e32 v8, v20, v8, vcc
	v_cmp_ne_u32_e32 vcc, 0, v0
	v_cndmask_b32_e64 v0, 0, 1, vcc
	v_lshl_or_b32 v0, v0, 9, v20
	v_cmp_eq_u32_e32 vcc, s15, v7
	v_cndmask_b32_e32 v0, v8, v0, vcc
	v_lshrrev_b32_e32 v1, 16, v1
	v_and_or_b32 v7, v1, s16, v0
	v_and_or_b32 v0, v6, s17, v5
	v_cmp_ne_u32_e32 vcc, 0, v0
	v_cndmask_b32_e64 v0, 0, 1, vcc
	v_lshrrev_b32_e32 v1, 8, v6
	v_bfe_u32 v5, v6, 20, 11
	v_and_or_b32 v0, v1, s14, v0
	v_sub_u32_e32 v8, 0x3f1, v5
	v_or_b32_e32 v1, 0x1000, v0
	v_med3_i32 v8, v8, 0, 13
	v_lshrrev_b32_e32 v9, v8, v1
	v_lshlrev_b32_e32 v8, v8, v9
	v_cmp_ne_u32_e32 vcc, v8, v1
	v_cndmask_b32_e64 v1, 0, 1, vcc
	v_add_u32_e32 v5, 0xfffffc10, v5
	v_or_b32_e32 v1, v9, v1
	v_lshl_or_b32 v8, v5, 12, v0
	v_cmp_gt_i32_e32 vcc, 1, v5
	v_cndmask_b32_e32 v1, v8, v1, vcc
	v_and_b32_e32 v8, 7, v1
	v_cmp_lt_i32_e32 vcc, 5, v8
	v_cmp_eq_u32_e64 s[2:3], 3, v8
	v_lshrrev_b32_e32 v1, 2, v1
	s_or_b64 vcc, s[2:3], vcc
	v_addc_co_u32_e32 v1, vcc, 0, v1, vcc
	v_cmp_gt_i32_e32 vcc, 31, v5
	v_lshrrev_b32_e32 v9, 16, v15
	v_cndmask_b32_e32 v8, v20, v1, vcc
	v_mul_f16_sdwa v1, v112, v9 dst_sel:DWORD dst_unused:UNUSED_PAD src0_sel:WORD_1 src1_sel:DWORD
	v_fma_f16 v1, v112, v15, v1
	v_cvt_f32_f16_e32 v1, v1
	v_cmp_ne_u32_e32 vcc, 0, v0
	v_cndmask_b32_e64 v0, 0, 1, vcc
	v_lshl_or_b32 v10, v0, 9, v20
	v_cvt_f64_f32_e32 v[0:1], v1
	v_cmp_eq_u32_e32 vcc, s15, v5
	v_cndmask_b32_e32 v5, v8, v10, vcc
	v_lshrrev_b32_e32 v6, 16, v6
	v_mul_f64 v[0:1], v[0:1], s[6:7]
	v_add_co_u32_e32 v3, vcc, s10, v3
	v_and_or_b32 v5, v6, s16, v5
	v_and_b32_e32 v6, 0xffff, v7
	v_addc_co_u32_e32 v4, vcc, v4, v2, vcc
	v_lshl_or_b32 v5, v5, 16, v6
	v_and_or_b32 v0, v1, s17, v0
	v_cmp_ne_u32_e32 vcc, 0, v0
	global_store_dword v[3:4], v5, off
	v_cndmask_b32_e64 v0, 0, 1, vcc
	v_lshrrev_b32_e32 v5, 8, v1
	v_bfe_u32 v6, v1, 20, 11
	v_and_or_b32 v0, v5, s14, v0
	v_sub_u32_e32 v7, 0x3f1, v6
	v_or_b32_e32 v5, 0x1000, v0
	v_med3_i32 v7, v7, 0, 13
	v_lshrrev_b32_e32 v8, v7, v5
	v_lshlrev_b32_e32 v7, v7, v8
	v_cmp_ne_u32_e32 vcc, v7, v5
	v_cndmask_b32_e64 v5, 0, 1, vcc
	v_or_b32_e32 v5, v8, v5
	v_mul_f16_sdwa v8, v112, v15 dst_sel:DWORD dst_unused:UNUSED_PAD src0_sel:WORD_1 src1_sel:DWORD
	v_fma_f16 v8, v112, v9, -v8
	v_add_u32_e32 v7, 0xfffffc10, v6
	v_cvt_f32_f16_e32 v8, v8
	v_lshl_or_b32 v6, v7, 12, v0
	v_cmp_gt_i32_e32 vcc, 1, v7
	v_cndmask_b32_e32 v5, v6, v5, vcc
	v_and_b32_e32 v6, 7, v5
	v_cmp_lt_i32_e32 vcc, 5, v6
	v_cmp_eq_u32_e64 s[2:3], 3, v6
	v_lshrrev_b32_e32 v9, 2, v5
	v_cvt_f64_f32_e32 v[5:6], v8
	s_or_b64 vcc, s[2:3], vcc
	v_addc_co_u32_e32 v8, vcc, 0, v9, vcc
	v_mul_f64 v[5:6], v[5:6], s[6:7]
	v_cmp_gt_i32_e32 vcc, 31, v7
	v_cndmask_b32_e32 v8, v20, v8, vcc
	v_cmp_ne_u32_e32 vcc, 0, v0
	v_cndmask_b32_e64 v0, 0, 1, vcc
	v_lshl_or_b32 v0, v0, 9, v20
	v_cmp_eq_u32_e32 vcc, s15, v7
	v_cndmask_b32_e32 v0, v8, v0, vcc
	v_lshrrev_b32_e32 v1, 16, v1
	v_and_or_b32 v7, v1, s16, v0
	v_and_or_b32 v0, v6, s17, v5
	v_cmp_ne_u32_e32 vcc, 0, v0
	v_cndmask_b32_e64 v0, 0, 1, vcc
	v_lshrrev_b32_e32 v1, 8, v6
	v_bfe_u32 v5, v6, 20, 11
	v_and_or_b32 v0, v1, s14, v0
	v_sub_u32_e32 v8, 0x3f1, v5
	v_or_b32_e32 v1, 0x1000, v0
	v_med3_i32 v8, v8, 0, 13
	v_lshrrev_b32_e32 v9, v8, v1
	v_lshlrev_b32_e32 v8, v8, v9
	v_cmp_ne_u32_e32 vcc, v8, v1
	v_cndmask_b32_e64 v1, 0, 1, vcc
	v_add_u32_e32 v5, 0xfffffc10, v5
	v_or_b32_e32 v1, v9, v1
	v_lshl_or_b32 v8, v5, 12, v0
	v_cmp_gt_i32_e32 vcc, 1, v5
	v_cndmask_b32_e32 v1, v8, v1, vcc
	v_and_b32_e32 v8, 7, v1
	v_cmp_lt_i32_e32 vcc, 5, v8
	v_cmp_eq_u32_e64 s[2:3], 3, v8
	v_lshrrev_b32_e32 v1, 2, v1
	s_or_b64 vcc, s[2:3], vcc
	v_addc_co_u32_e32 v1, vcc, 0, v1, vcc
	v_cmp_gt_i32_e32 vcc, 31, v5
	v_lshrrev_b32_e32 v9, 16, v17
	v_cndmask_b32_e32 v8, v20, v1, vcc
	v_mul_f16_sdwa v1, v111, v9 dst_sel:DWORD dst_unused:UNUSED_PAD src0_sel:WORD_1 src1_sel:DWORD
	v_fma_f16 v1, v111, v17, v1
	v_cvt_f32_f16_e32 v1, v1
	v_cmp_ne_u32_e32 vcc, 0, v0
	v_cndmask_b32_e64 v0, 0, 1, vcc
	v_lshl_or_b32 v10, v0, 9, v20
	v_cvt_f64_f32_e32 v[0:1], v1
	v_cmp_eq_u32_e32 vcc, s15, v5
	v_cndmask_b32_e32 v5, v8, v10, vcc
	v_lshrrev_b32_e32 v6, 16, v6
	v_mul_f64 v[0:1], v[0:1], s[6:7]
	v_add_co_u32_e32 v3, vcc, s10, v3
	v_and_or_b32 v5, v6, s16, v5
	v_and_b32_e32 v6, 0xffff, v7
	v_addc_co_u32_e32 v4, vcc, v4, v2, vcc
	v_lshl_or_b32 v5, v5, 16, v6
	v_and_or_b32 v0, v1, s17, v0
	v_cmp_ne_u32_e32 vcc, 0, v0
	global_store_dword v[3:4], v5, off
	v_cndmask_b32_e64 v0, 0, 1, vcc
	v_lshrrev_b32_e32 v5, 8, v1
	v_bfe_u32 v6, v1, 20, 11
	v_and_or_b32 v0, v5, s14, v0
	v_sub_u32_e32 v7, 0x3f1, v6
	v_or_b32_e32 v5, 0x1000, v0
	v_med3_i32 v7, v7, 0, 13
	v_lshrrev_b32_e32 v8, v7, v5
	v_lshlrev_b32_e32 v7, v7, v8
	v_cmp_ne_u32_e32 vcc, v7, v5
	v_cndmask_b32_e64 v5, 0, 1, vcc
	v_or_b32_e32 v5, v8, v5
	v_mul_f16_sdwa v8, v111, v17 dst_sel:DWORD dst_unused:UNUSED_PAD src0_sel:WORD_1 src1_sel:DWORD
	v_fma_f16 v8, v111, v9, -v8
	v_add_u32_e32 v7, 0xfffffc10, v6
	v_cvt_f32_f16_e32 v8, v8
	v_lshl_or_b32 v6, v7, 12, v0
	v_cmp_gt_i32_e32 vcc, 1, v7
	v_cndmask_b32_e32 v5, v6, v5, vcc
	v_and_b32_e32 v6, 7, v5
	v_cmp_lt_i32_e32 vcc, 5, v6
	v_cmp_eq_u32_e64 s[2:3], 3, v6
	v_lshrrev_b32_e32 v9, 2, v5
	v_cvt_f64_f32_e32 v[5:6], v8
	s_or_b64 vcc, s[2:3], vcc
	v_addc_co_u32_e32 v8, vcc, 0, v9, vcc
	v_mul_f64 v[5:6], v[5:6], s[6:7]
	v_cmp_gt_i32_e32 vcc, 31, v7
	v_cndmask_b32_e32 v8, v20, v8, vcc
	v_cmp_ne_u32_e32 vcc, 0, v0
	v_cndmask_b32_e64 v0, 0, 1, vcc
	v_lshl_or_b32 v0, v0, 9, v20
	v_cmp_eq_u32_e32 vcc, s15, v7
	v_cndmask_b32_e32 v0, v8, v0, vcc
	v_lshrrev_b32_e32 v1, 16, v1
	v_and_or_b32 v7, v1, s16, v0
	v_and_or_b32 v0, v6, s17, v5
	v_cmp_ne_u32_e32 vcc, 0, v0
	v_cndmask_b32_e64 v0, 0, 1, vcc
	v_lshrrev_b32_e32 v1, 8, v6
	v_bfe_u32 v5, v6, 20, 11
	v_and_or_b32 v0, v1, s14, v0
	v_sub_u32_e32 v8, 0x3f1, v5
	v_or_b32_e32 v1, 0x1000, v0
	v_med3_i32 v8, v8, 0, 13
	v_lshrrev_b32_e32 v9, v8, v1
	v_lshlrev_b32_e32 v8, v8, v9
	v_cmp_ne_u32_e32 vcc, v8, v1
	v_cndmask_b32_e64 v1, 0, 1, vcc
	v_add_u32_e32 v5, 0xfffffc10, v5
	v_or_b32_e32 v1, v9, v1
	v_lshl_or_b32 v8, v5, 12, v0
	v_cmp_gt_i32_e32 vcc, 1, v5
	v_cndmask_b32_e32 v1, v8, v1, vcc
	v_and_b32_e32 v8, 7, v1
	v_cmp_lt_i32_e32 vcc, 5, v8
	v_cmp_eq_u32_e64 s[2:3], 3, v8
	v_lshrrev_b32_e32 v1, 2, v1
	s_or_b64 vcc, s[2:3], vcc
	v_addc_co_u32_e32 v1, vcc, 0, v1, vcc
	v_cmp_gt_i32_e32 vcc, 31, v5
	v_lshrrev_b32_e32 v9, 16, v19
	v_cndmask_b32_e32 v8, v20, v1, vcc
	v_mul_f16_sdwa v1, v110, v9 dst_sel:DWORD dst_unused:UNUSED_PAD src0_sel:WORD_1 src1_sel:DWORD
	v_fma_f16 v1, v110, v19, v1
	v_cvt_f32_f16_e32 v1, v1
	v_cmp_ne_u32_e32 vcc, 0, v0
	v_cndmask_b32_e64 v0, 0, 1, vcc
	v_lshl_or_b32 v10, v0, 9, v20
	v_cvt_f64_f32_e32 v[0:1], v1
	v_cmp_eq_u32_e32 vcc, s15, v5
	v_cndmask_b32_e32 v5, v8, v10, vcc
	v_lshrrev_b32_e32 v6, 16, v6
	v_mul_f64 v[0:1], v[0:1], s[6:7]
	v_add_co_u32_e32 v3, vcc, s10, v3
	v_and_or_b32 v5, v6, s16, v5
	v_and_b32_e32 v6, 0xffff, v7
	v_addc_co_u32_e32 v4, vcc, v4, v2, vcc
	v_lshl_or_b32 v5, v5, 16, v6
	v_and_or_b32 v0, v1, s17, v0
	v_cmp_ne_u32_e32 vcc, 0, v0
	global_store_dword v[3:4], v5, off
	v_cndmask_b32_e64 v0, 0, 1, vcc
	v_lshrrev_b32_e32 v5, 8, v1
	v_bfe_u32 v6, v1, 20, 11
	v_and_or_b32 v0, v5, s14, v0
	v_sub_u32_e32 v7, 0x3f1, v6
	v_or_b32_e32 v5, 0x1000, v0
	v_med3_i32 v7, v7, 0, 13
	v_lshrrev_b32_e32 v8, v7, v5
	v_lshlrev_b32_e32 v7, v7, v8
	v_cmp_ne_u32_e32 vcc, v7, v5
	v_cndmask_b32_e64 v5, 0, 1, vcc
	v_or_b32_e32 v5, v8, v5
	v_mul_f16_sdwa v8, v110, v19 dst_sel:DWORD dst_unused:UNUSED_PAD src0_sel:WORD_1 src1_sel:DWORD
	v_fma_f16 v8, v110, v9, -v8
	v_add_u32_e32 v7, 0xfffffc10, v6
	v_cvt_f32_f16_e32 v8, v8
	v_lshl_or_b32 v6, v7, 12, v0
	v_cmp_gt_i32_e32 vcc, 1, v7
	v_cndmask_b32_e32 v5, v6, v5, vcc
	v_and_b32_e32 v6, 7, v5
	v_cmp_lt_i32_e32 vcc, 5, v6
	v_cmp_eq_u32_e64 s[2:3], 3, v6
	v_lshrrev_b32_e32 v9, 2, v5
	v_cvt_f64_f32_e32 v[5:6], v8
	s_or_b64 vcc, s[2:3], vcc
	v_addc_co_u32_e32 v8, vcc, 0, v9, vcc
	v_mul_f64 v[5:6], v[5:6], s[6:7]
	v_cmp_gt_i32_e32 vcc, 31, v7
	v_cndmask_b32_e32 v8, v20, v8, vcc
	v_cmp_ne_u32_e32 vcc, 0, v0
	v_cndmask_b32_e64 v0, 0, 1, vcc
	v_lshl_or_b32 v0, v0, 9, v20
	v_cmp_eq_u32_e32 vcc, s15, v7
	v_cndmask_b32_e32 v0, v8, v0, vcc
	v_lshrrev_b32_e32 v1, 16, v1
	v_and_or_b32 v0, v1, s16, v0
	v_and_or_b32 v1, v6, s17, v5
	v_cmp_ne_u32_e32 vcc, 0, v1
	v_cndmask_b32_e64 v1, 0, 1, vcc
	v_lshrrev_b32_e32 v5, 8, v6
	v_bfe_u32 v7, v6, 20, 11
	v_and_or_b32 v1, v5, s14, v1
	v_sub_u32_e32 v8, 0x3f1, v7
	v_or_b32_e32 v5, 0x1000, v1
	v_med3_i32 v8, v8, 0, 13
	v_lshrrev_b32_e32 v9, v8, v5
	v_lshlrev_b32_e32 v8, v8, v9
	v_cmp_ne_u32_e32 vcc, v8, v5
	v_cndmask_b32_e64 v5, 0, 1, vcc
	v_add_u32_e32 v7, 0xfffffc10, v7
	v_or_b32_e32 v5, v9, v5
	v_lshl_or_b32 v8, v7, 12, v1
	v_cmp_gt_i32_e32 vcc, 1, v7
	v_cndmask_b32_e32 v5, v8, v5, vcc
	v_and_b32_e32 v8, 7, v5
	v_cmp_lt_i32_e32 vcc, 5, v8
	v_cmp_eq_u32_e64 s[2:3], 3, v8
	v_lshrrev_b32_e32 v5, 2, v5
	s_or_b64 vcc, s[2:3], vcc
	v_addc_co_u32_e32 v5, vcc, 0, v5, vcc
	v_cmp_gt_i32_e32 vcc, 31, v7
	v_cndmask_b32_e32 v5, v20, v5, vcc
	v_cmp_ne_u32_e32 vcc, 0, v1
	v_cndmask_b32_e64 v1, 0, 1, vcc
	v_lshl_or_b32 v1, v1, 9, v20
	v_cmp_eq_u32_e32 vcc, s15, v7
	v_cndmask_b32_e32 v1, v5, v1, vcc
	v_lshrrev_b32_e32 v5, 16, v6
	v_and_or_b32 v1, v5, s16, v1
	v_and_b32_e32 v0, 0xffff, v0
	v_lshl_or_b32 v5, v1, 16, v0
	v_add_co_u32_e32 v0, vcc, s10, v3
	s_movk_i32 s18, 0x1000
	v_addc_co_u32_e32 v1, vcc, v4, v2, vcc
	global_store_dword v[0:1], v5, off
	s_and_b64 exec, exec, s[0:1]
	s_cbranch_execz .LBB0_31
; %bb.30:
	global_load_dword v4, v[40:41], off offset:720
	v_add_u32_e32 v2, 0x280, v109
	ds_read2_b32 v[2:3], v2 offset0:20 offset1:245
	v_add_co_u32_e32 v0, vcc, s4, v0
	s_waitcnt lgkmcnt(0)
	v_lshrrev_b32_e32 v5, 16, v2
	s_waitcnt vmcnt(0)
	v_mul_f16_sdwa v6, v5, v4 dst_sel:DWORD dst_unused:UNUSED_PAD src0_sel:DWORD src1_sel:WORD_1
	v_fma_f16 v6, v2, v4, v6
	v_mul_f16_sdwa v2, v2, v4 dst_sel:DWORD dst_unused:UNUSED_PAD src0_sel:DWORD src1_sel:WORD_1
	v_cvt_f32_f16_e32 v6, v6
	v_fma_f16 v2, v4, v5, -v2
	v_cvt_f32_f16_e32 v2, v2
	v_cvt_f64_f32_e32 v[4:5], v6
	v_cvt_f64_f32_e32 v[6:7], v2
	v_mov_b32_e32 v2, s5
	v_mul_f64 v[4:5], v[4:5], s[6:7]
	v_addc_co_u32_e32 v1, vcc, v1, v2, vcc
	v_mul_f64 v[6:7], v[6:7], s[6:7]
	v_and_or_b32 v2, v5, s17, v4
	v_cmp_ne_u32_e32 vcc, 0, v2
	v_lshrrev_b32_e32 v4, 8, v5
	v_and_or_b32 v6, v7, s17, v6
	v_bfe_u32 v8, v5, 20, 11
	v_cndmask_b32_e64 v2, 0, 1, vcc
	v_cmp_ne_u32_e32 vcc, 0, v6
	v_lshrrev_b32_e32 v9, 8, v7
	v_bfe_u32 v10, v7, 20, 11
	v_sub_u32_e32 v11, 0x3f1, v8
	v_cndmask_b32_e64 v6, 0, 1, vcc
	v_and_or_b32 v2, v4, s14, v2
	v_sub_u32_e32 v12, 0x3f1, v10
	v_med3_i32 v4, v11, 0, 13
	v_and_or_b32 v6, v9, s14, v6
	v_or_b32_e32 v11, 0x1000, v2
	v_add_u32_e32 v8, 0xfffffc10, v8
	v_med3_i32 v9, v12, 0, 13
	v_cmp_ne_u32_e32 vcc, 0, v2
	v_or_b32_e32 v13, 0x1000, v6
	v_lshrrev_b32_e32 v15, v4, v11
	v_add_u32_e32 v10, 0xfffffc10, v10
	v_lshl_or_b32 v12, v8, 12, v2
	v_cndmask_b32_e64 v2, 0, 1, vcc
	v_cmp_ne_u32_e32 vcc, 0, v6
	v_lshrrev_b32_e32 v16, v9, v13
	v_lshlrev_b32_e32 v4, v4, v15
	v_lshl_or_b32 v14, v10, 12, v6
	v_cndmask_b32_e64 v6, 0, 1, vcc
	v_lshlrev_b32_e32 v9, v9, v16
	v_cmp_ne_u32_e32 vcc, v4, v11
	v_cndmask_b32_e64 v4, 0, 1, vcc
	v_cmp_ne_u32_e32 vcc, v9, v13
	v_cndmask_b32_e64 v9, 0, 1, vcc
	v_or_b32_e32 v4, v15, v4
	v_cmp_gt_i32_e32 vcc, 1, v8
	v_cndmask_b32_e32 v4, v12, v4, vcc
	v_or_b32_e32 v9, v16, v9
	v_cmp_gt_i32_e32 vcc, 1, v10
	v_and_b32_e32 v11, 7, v4
	v_cndmask_b32_e32 v9, v14, v9, vcc
	v_cmp_lt_i32_e32 vcc, 5, v11
	v_cmp_eq_u32_e64 s[0:1], 3, v11
	v_lshrrev_b32_e32 v4, 2, v4
	v_and_b32_e32 v12, 7, v9
	s_or_b64 vcc, s[0:1], vcc
	v_cmp_lt_i32_e64 s[2:3], 5, v12
	v_cmp_eq_u32_e64 s[4:5], 3, v12
	v_addc_co_u32_e32 v4, vcc, 0, v4, vcc
	v_lshrrev_b32_e32 v9, 2, v9
	s_or_b64 vcc, s[4:5], s[2:3]
	v_addc_co_u32_e32 v9, vcc, 0, v9, vcc
	v_cmp_gt_i32_e32 vcc, 31, v8
	v_cndmask_b32_e32 v4, v20, v4, vcc
	v_cmp_gt_i32_e32 vcc, 31, v10
	v_lshl_or_b32 v2, v2, 9, v20
	v_cndmask_b32_e32 v9, v20, v9, vcc
	v_cmp_eq_u32_e32 vcc, s15, v8
	v_lshrrev_b32_e32 v5, 16, v5
	v_lshl_or_b32 v6, v6, 9, v20
	v_cndmask_b32_e32 v2, v4, v2, vcc
	v_cmp_eq_u32_e32 vcc, s15, v10
	v_lshrrev_b32_e32 v7, 16, v7
	v_cndmask_b32_e32 v4, v9, v6, vcc
	v_and_or_b32 v2, v5, s16, v2
	v_and_or_b32 v4, v7, s16, v4
	v_and_b32_e32 v2, 0xffff, v2
	v_lshl_or_b32 v2, v4, 16, v2
	global_store_dword v[0:1], v2, off
	global_load_dword v2, v[40:41], off offset:1620
	v_lshrrev_b32_e32 v4, 16, v3
	v_add_co_u32_e32 v0, vcc, s10, v0
	s_waitcnt vmcnt(0)
	v_mul_f16_sdwa v5, v4, v2 dst_sel:DWORD dst_unused:UNUSED_PAD src0_sel:DWORD src1_sel:WORD_1
	v_fma_f16 v5, v3, v2, v5
	v_mul_f16_sdwa v3, v3, v2 dst_sel:DWORD dst_unused:UNUSED_PAD src0_sel:DWORD src1_sel:WORD_1
	v_cvt_f32_f16_e32 v5, v5
	v_fma_f16 v2, v2, v4, -v3
	v_cvt_f32_f16_e32 v4, v2
	v_cvt_f64_f32_e32 v[2:3], v5
	v_cvt_f64_f32_e32 v[4:5], v4
	v_mul_f64 v[6:7], v[2:3], s[6:7]
	v_mov_b32_e32 v2, s11
	v_mul_f64 v[3:4], v[4:5], s[6:7]
	v_addc_co_u32_e32 v1, vcc, v1, v2, vcc
	v_and_or_b32 v5, v7, s17, v6
	v_cmp_ne_u32_e32 vcc, 0, v5
	v_and_or_b32 v3, v4, s17, v3
	v_lshrrev_b32_e32 v6, 8, v7
	v_bfe_u32 v8, v7, 20, 11
	v_cndmask_b32_e64 v5, 0, 1, vcc
	v_cmp_ne_u32_e32 vcc, 0, v3
	v_lshrrev_b32_e32 v9, 8, v4
	v_bfe_u32 v10, v4, 20, 11
	v_sub_u32_e32 v11, 0x3f1, v8
	v_cndmask_b32_e64 v3, 0, 1, vcc
	v_and_or_b32 v5, v6, s14, v5
	v_sub_u32_e32 v12, 0x3f1, v10
	v_med3_i32 v6, v11, 0, 13
	v_and_or_b32 v3, v9, s14, v3
	v_or_b32_e32 v11, 0x1000, v5
	v_add_u32_e32 v8, 0xfffffc10, v8
	v_med3_i32 v9, v12, 0, 13
	v_cmp_ne_u32_e32 vcc, 0, v5
	v_or_b32_e32 v13, 0x1000, v3
	v_lshrrev_b32_e32 v15, v6, v11
	v_add_u32_e32 v10, 0xfffffc10, v10
	v_lshl_or_b32 v12, v8, 12, v5
	v_cndmask_b32_e64 v5, 0, 1, vcc
	v_cmp_ne_u32_e32 vcc, 0, v3
	v_lshrrev_b32_e32 v16, v9, v13
	v_lshlrev_b32_e32 v6, v6, v15
	v_lshl_or_b32 v14, v10, 12, v3
	v_cndmask_b32_e64 v3, 0, 1, vcc
	v_lshlrev_b32_e32 v9, v9, v16
	v_cmp_ne_u32_e32 vcc, v6, v11
	v_cndmask_b32_e64 v6, 0, 1, vcc
	v_cmp_ne_u32_e32 vcc, v9, v13
	v_cndmask_b32_e64 v9, 0, 1, vcc
	v_or_b32_e32 v6, v15, v6
	v_cmp_gt_i32_e32 vcc, 1, v8
	v_cndmask_b32_e32 v6, v12, v6, vcc
	v_or_b32_e32 v9, v16, v9
	v_cmp_gt_i32_e32 vcc, 1, v10
	v_and_b32_e32 v11, 7, v6
	v_cndmask_b32_e32 v9, v14, v9, vcc
	v_cmp_lt_i32_e32 vcc, 5, v11
	v_cmp_eq_u32_e64 s[0:1], 3, v11
	v_lshrrev_b32_e32 v6, 2, v6
	v_and_b32_e32 v12, 7, v9
	s_or_b64 vcc, s[0:1], vcc
	v_cmp_lt_i32_e64 s[2:3], 5, v12
	v_cmp_eq_u32_e64 s[4:5], 3, v12
	v_addc_co_u32_e32 v6, vcc, 0, v6, vcc
	v_lshrrev_b32_e32 v9, 2, v9
	s_or_b64 vcc, s[4:5], s[2:3]
	v_addc_co_u32_e32 v9, vcc, 0, v9, vcc
	v_cmp_gt_i32_e32 vcc, 31, v8
	v_cndmask_b32_e32 v6, v20, v6, vcc
	v_cmp_gt_i32_e32 vcc, 31, v10
	v_lshl_or_b32 v5, v5, 9, v20
	v_cndmask_b32_e32 v9, v20, v9, vcc
	v_cmp_eq_u32_e32 vcc, s15, v8
	v_lshrrev_b32_e32 v7, 16, v7
	v_lshl_or_b32 v3, v3, 9, v20
	v_cndmask_b32_e32 v5, v6, v5, vcc
	v_cmp_eq_u32_e32 vcc, s15, v10
	v_lshrrev_b32_e32 v4, 16, v4
	v_cndmask_b32_e32 v3, v9, v3, vcc
	v_and_or_b32 v5, v7, s16, v5
	v_and_or_b32 v3, v4, s16, v3
	v_and_b32_e32 v4, 0xffff, v5
	v_lshl_or_b32 v3, v3, 16, v4
	global_store_dword v[0:1], v3, off
	global_load_dword v5, v[40:41], off offset:2520
	v_add_u32_e32 v3, 0x980, v109
	ds_read2_b32 v[3:4], v3 offset0:22 offset1:247
	v_add_co_u32_e32 v9, vcc, s10, v0
	v_addc_co_u32_e32 v10, vcc, v1, v2, vcc
	s_waitcnt lgkmcnt(0)
	v_lshrrev_b32_e32 v6, 16, v3
	s_waitcnt vmcnt(0)
	v_mul_f16_sdwa v7, v6, v5 dst_sel:DWORD dst_unused:UNUSED_PAD src0_sel:DWORD src1_sel:WORD_1
	v_fma_f16 v7, v3, v5, v7
	v_mul_f16_sdwa v3, v3, v5 dst_sel:DWORD dst_unused:UNUSED_PAD src0_sel:DWORD src1_sel:WORD_1
	v_cvt_f32_f16_e32 v7, v7
	v_fma_f16 v3, v5, v6, -v3
	v_cvt_f32_f16_e32 v3, v3
	v_cvt_f64_f32_e32 v[5:6], v7
	v_cvt_f64_f32_e32 v[7:8], v3
	v_mul_f64 v[5:6], v[5:6], s[6:7]
	v_mul_f64 v[7:8], v[7:8], s[6:7]
	v_and_or_b32 v0, v6, s17, v5
	v_lshrrev_b32_e32 v1, 8, v6
	v_bfe_u32 v3, v6, 20, 11
	v_lshrrev_b32_e32 v5, 16, v6
	v_and_or_b32 v6, v8, s17, v7
	v_cmp_ne_u32_e32 vcc, 0, v0
	v_cndmask_b32_e64 v0, 0, 1, vcc
	v_cmp_ne_u32_e32 vcc, 0, v6
	v_lshrrev_b32_e32 v7, 8, v8
	v_bfe_u32 v11, v8, 20, 11
	v_sub_u32_e32 v12, 0x3f1, v3
	v_cndmask_b32_e64 v6, 0, 1, vcc
	v_and_or_b32 v0, v1, s14, v0
	v_sub_u32_e32 v13, 0x3f1, v11
	v_med3_i32 v1, v12, 0, 13
	v_and_or_b32 v6, v7, s14, v6
	v_or_b32_e32 v12, 0x1000, v0
	v_add_u32_e32 v3, 0xfffffc10, v3
	v_med3_i32 v7, v13, 0, 13
	v_cmp_ne_u32_e32 vcc, 0, v0
	v_or_b32_e32 v14, 0x1000, v6
	v_lshrrev_b32_e32 v16, v1, v12
	v_add_u32_e32 v11, 0xfffffc10, v11
	v_lshl_or_b32 v13, v3, 12, v0
	v_cndmask_b32_e64 v0, 0, 1, vcc
	v_cmp_ne_u32_e32 vcc, 0, v6
	v_lshrrev_b32_e32 v17, v7, v14
	v_lshlrev_b32_e32 v1, v1, v16
	v_lshl_or_b32 v15, v11, 12, v6
	v_cndmask_b32_e64 v6, 0, 1, vcc
	v_lshlrev_b32_e32 v7, v7, v17
	v_cmp_ne_u32_e32 vcc, v1, v12
	v_cndmask_b32_e64 v1, 0, 1, vcc
	v_cmp_ne_u32_e32 vcc, v7, v14
	v_cndmask_b32_e64 v7, 0, 1, vcc
	v_or_b32_e32 v1, v16, v1
	v_cmp_gt_i32_e32 vcc, 1, v3
	v_cndmask_b32_e32 v1, v13, v1, vcc
	v_or_b32_e32 v7, v17, v7
	v_cmp_gt_i32_e32 vcc, 1, v11
	v_and_b32_e32 v12, 7, v1
	v_cndmask_b32_e32 v7, v15, v7, vcc
	v_cmp_lt_i32_e32 vcc, 5, v12
	v_cmp_eq_u32_e64 s[0:1], 3, v12
	v_lshrrev_b32_e32 v1, 2, v1
	v_and_b32_e32 v13, 7, v7
	s_or_b64 vcc, s[0:1], vcc
	v_cmp_lt_i32_e64 s[2:3], 5, v13
	v_cmp_eq_u32_e64 s[4:5], 3, v13
	v_addc_co_u32_e32 v1, vcc, 0, v1, vcc
	v_lshrrev_b32_e32 v7, 2, v7
	s_or_b64 vcc, s[4:5], s[2:3]
	v_addc_co_u32_e32 v7, vcc, 0, v7, vcc
	v_cmp_gt_i32_e32 vcc, 31, v3
	v_cndmask_b32_e32 v1, v20, v1, vcc
	v_cmp_gt_i32_e32 vcc, 31, v11
	v_lshl_or_b32 v0, v0, 9, v20
	v_cndmask_b32_e32 v7, v20, v7, vcc
	v_cmp_eq_u32_e32 vcc, s15, v3
	v_lshl_or_b32 v6, v6, 9, v20
	v_cndmask_b32_e32 v0, v1, v0, vcc
	v_cmp_eq_u32_e32 vcc, s15, v11
	v_lshrrev_b32_e32 v8, 16, v8
	v_cndmask_b32_e32 v1, v7, v6, vcc
	v_and_or_b32 v0, v5, s16, v0
	v_and_or_b32 v1, v8, s16, v1
	v_and_b32_e32 v0, 0xffff, v0
	v_lshl_or_b32 v0, v1, 16, v0
	global_store_dword v[9:10], v0, off
	global_load_dword v0, v[40:41], off offset:3420
	v_lshrrev_b32_e32 v1, 16, v4
	s_waitcnt vmcnt(0)
	v_mul_f16_sdwa v3, v1, v0 dst_sel:DWORD dst_unused:UNUSED_PAD src0_sel:DWORD src1_sel:WORD_1
	v_fma_f16 v3, v4, v0, v3
	v_mul_f16_sdwa v4, v4, v0 dst_sel:DWORD dst_unused:UNUSED_PAD src0_sel:DWORD src1_sel:WORD_1
	v_cvt_f32_f16_e32 v3, v3
	v_fma_f16 v0, v0, v1, -v4
	v_cvt_f32_f16_e32 v4, v0
	v_cvt_f64_f32_e32 v[0:1], v3
	v_cvt_f64_f32_e32 v[3:4], v4
	v_mul_f64 v[5:6], v[0:1], s[6:7]
	v_add_co_u32_e32 v0, vcc, s18, v40
	v_mul_f64 v[3:4], v[3:4], s[6:7]
	v_addc_co_u32_e32 v1, vcc, 0, v41, vcc
	v_add_co_u32_e32 v7, vcc, s10, v9
	v_addc_co_u32_e32 v8, vcc, v10, v2, vcc
	v_and_or_b32 v5, v6, s17, v5
	v_and_or_b32 v3, v4, s17, v3
	v_cmp_ne_u32_e32 vcc, 0, v5
	v_lshrrev_b32_e32 v9, 8, v6
	v_bfe_u32 v10, v6, 20, 11
	v_cndmask_b32_e64 v5, 0, 1, vcc
	v_cmp_ne_u32_e32 vcc, 0, v3
	v_lshrrev_b32_e32 v11, 8, v4
	v_bfe_u32 v12, v4, 20, 11
	v_sub_u32_e32 v13, 0x3f1, v10
	v_cndmask_b32_e64 v3, 0, 1, vcc
	v_and_or_b32 v5, v9, s14, v5
	v_sub_u32_e32 v14, 0x3f1, v12
	v_med3_i32 v9, v13, 0, 13
	v_and_or_b32 v3, v11, s14, v3
	v_or_b32_e32 v13, 0x1000, v5
	v_add_u32_e32 v10, 0xfffffc10, v10
	v_med3_i32 v11, v14, 0, 13
	v_cmp_ne_u32_e32 vcc, 0, v5
	v_or_b32_e32 v15, 0x1000, v3
	v_lshrrev_b32_e32 v17, v9, v13
	v_add_u32_e32 v12, 0xfffffc10, v12
	v_lshl_or_b32 v14, v10, 12, v5
	v_cndmask_b32_e64 v5, 0, 1, vcc
	v_cmp_ne_u32_e32 vcc, 0, v3
	v_lshrrev_b32_e32 v18, v11, v15
	v_lshlrev_b32_e32 v9, v9, v17
	v_lshl_or_b32 v16, v12, 12, v3
	v_cndmask_b32_e64 v3, 0, 1, vcc
	v_lshlrev_b32_e32 v11, v11, v18
	v_cmp_ne_u32_e32 vcc, v9, v13
	v_cndmask_b32_e64 v9, 0, 1, vcc
	v_cmp_ne_u32_e32 vcc, v11, v15
	v_cndmask_b32_e64 v11, 0, 1, vcc
	v_or_b32_e32 v9, v17, v9
	v_cmp_gt_i32_e32 vcc, 1, v10
	v_cndmask_b32_e32 v9, v14, v9, vcc
	v_or_b32_e32 v11, v18, v11
	v_cmp_gt_i32_e32 vcc, 1, v12
	v_and_b32_e32 v13, 7, v9
	v_cndmask_b32_e32 v11, v16, v11, vcc
	v_cmp_lt_i32_e32 vcc, 5, v13
	v_cmp_eq_u32_e64 s[0:1], 3, v13
	v_lshrrev_b32_e32 v9, 2, v9
	v_and_b32_e32 v14, 7, v11
	s_or_b64 vcc, s[0:1], vcc
	v_cmp_lt_i32_e64 s[2:3], 5, v14
	v_cmp_eq_u32_e64 s[4:5], 3, v14
	v_addc_co_u32_e32 v9, vcc, 0, v9, vcc
	v_lshrrev_b32_e32 v11, 2, v11
	s_or_b64 vcc, s[4:5], s[2:3]
	v_addc_co_u32_e32 v11, vcc, 0, v11, vcc
	v_cmp_gt_i32_e32 vcc, 31, v10
	v_cndmask_b32_e32 v9, v20, v9, vcc
	v_cmp_gt_i32_e32 vcc, 31, v12
	v_lshl_or_b32 v5, v5, 9, v20
	v_cndmask_b32_e32 v11, v20, v11, vcc
	v_cmp_eq_u32_e32 vcc, s15, v10
	v_lshrrev_b32_e32 v6, 16, v6
	v_lshl_or_b32 v3, v3, 9, v20
	v_cndmask_b32_e32 v5, v9, v5, vcc
	v_cmp_eq_u32_e32 vcc, s15, v12
	v_lshrrev_b32_e32 v4, 16, v4
	v_cndmask_b32_e32 v3, v11, v3, vcc
	v_and_or_b32 v5, v6, s16, v5
	v_and_or_b32 v3, v4, s16, v3
	v_and_b32_e32 v4, 0xffff, v5
	v_lshl_or_b32 v3, v3, 16, v4
	global_store_dword v[7:8], v3, off
	global_load_dword v5, v[0:1], off offset:224
	v_add_u32_e32 v3, 0x1080, v109
	ds_read2_b32 v[3:4], v3 offset0:24 offset1:249
	v_add_co_u32_e32 v7, vcc, s10, v7
	v_addc_co_u32_e32 v8, vcc, v8, v2, vcc
	s_waitcnt lgkmcnt(0)
	v_lshrrev_b32_e32 v6, 16, v3
	s_waitcnt vmcnt(0)
	v_mul_f16_sdwa v9, v6, v5 dst_sel:DWORD dst_unused:UNUSED_PAD src0_sel:DWORD src1_sel:WORD_1
	v_fma_f16 v9, v3, v5, v9
	v_mul_f16_sdwa v3, v3, v5 dst_sel:DWORD dst_unused:UNUSED_PAD src0_sel:DWORD src1_sel:WORD_1
	v_cvt_f32_f16_e32 v9, v9
	v_fma_f16 v3, v5, v6, -v3
	v_cvt_f32_f16_e32 v3, v3
	v_cvt_f64_f32_e32 v[5:6], v9
	v_cvt_f64_f32_e32 v[9:10], v3
	v_mul_f64 v[5:6], v[5:6], s[6:7]
	v_mul_f64 v[9:10], v[9:10], s[6:7]
	v_and_or_b32 v3, v6, s17, v5
	v_cmp_ne_u32_e32 vcc, 0, v3
	v_and_or_b32 v9, v10, s17, v9
	v_lshrrev_b32_e32 v5, 8, v6
	v_bfe_u32 v11, v6, 20, 11
	v_cndmask_b32_e64 v3, 0, 1, vcc
	v_cmp_ne_u32_e32 vcc, 0, v9
	v_lshrrev_b32_e32 v12, 8, v10
	v_bfe_u32 v13, v10, 20, 11
	v_sub_u32_e32 v14, 0x3f1, v11
	v_cndmask_b32_e64 v9, 0, 1, vcc
	v_and_or_b32 v3, v5, s14, v3
	v_sub_u32_e32 v15, 0x3f1, v13
	v_med3_i32 v5, v14, 0, 13
	v_and_or_b32 v9, v12, s14, v9
	v_or_b32_e32 v14, 0x1000, v3
	v_add_u32_e32 v11, 0xfffffc10, v11
	v_med3_i32 v12, v15, 0, 13
	v_cmp_ne_u32_e32 vcc, 0, v3
	v_or_b32_e32 v16, 0x1000, v9
	v_lshrrev_b32_e32 v18, v5, v14
	v_add_u32_e32 v13, 0xfffffc10, v13
	v_lshl_or_b32 v15, v11, 12, v3
	v_cndmask_b32_e64 v3, 0, 1, vcc
	v_cmp_ne_u32_e32 vcc, 0, v9
	v_lshrrev_b32_e32 v19, v12, v16
	v_lshlrev_b32_e32 v5, v5, v18
	v_lshl_or_b32 v17, v13, 12, v9
	v_cndmask_b32_e64 v9, 0, 1, vcc
	v_lshlrev_b32_e32 v12, v12, v19
	v_cmp_ne_u32_e32 vcc, v5, v14
	v_cndmask_b32_e64 v5, 0, 1, vcc
	v_cmp_ne_u32_e32 vcc, v12, v16
	v_cndmask_b32_e64 v12, 0, 1, vcc
	v_or_b32_e32 v5, v18, v5
	v_cmp_gt_i32_e32 vcc, 1, v11
	v_cndmask_b32_e32 v5, v15, v5, vcc
	v_or_b32_e32 v12, v19, v12
	v_cmp_gt_i32_e32 vcc, 1, v13
	v_and_b32_e32 v14, 7, v5
	v_cndmask_b32_e32 v12, v17, v12, vcc
	v_cmp_lt_i32_e32 vcc, 5, v14
	v_cmp_eq_u32_e64 s[0:1], 3, v14
	v_lshrrev_b32_e32 v5, 2, v5
	v_and_b32_e32 v15, 7, v12
	s_or_b64 vcc, s[0:1], vcc
	v_cmp_lt_i32_e64 s[2:3], 5, v15
	v_cmp_eq_u32_e64 s[4:5], 3, v15
	v_addc_co_u32_e32 v5, vcc, 0, v5, vcc
	v_lshrrev_b32_e32 v12, 2, v12
	s_or_b64 vcc, s[4:5], s[2:3]
	v_addc_co_u32_e32 v12, vcc, 0, v12, vcc
	v_cmp_gt_i32_e32 vcc, 31, v11
	v_cndmask_b32_e32 v5, v20, v5, vcc
	v_cmp_gt_i32_e32 vcc, 31, v13
	v_lshl_or_b32 v3, v3, 9, v20
	v_cndmask_b32_e32 v12, v20, v12, vcc
	v_cmp_eq_u32_e32 vcc, s15, v11
	v_lshrrev_b32_e32 v6, 16, v6
	v_lshl_or_b32 v9, v9, 9, v20
	v_cndmask_b32_e32 v3, v5, v3, vcc
	v_cmp_eq_u32_e32 vcc, s15, v13
	v_lshrrev_b32_e32 v10, 16, v10
	v_cndmask_b32_e32 v5, v12, v9, vcc
	v_and_or_b32 v3, v6, s16, v3
	v_and_or_b32 v5, v10, s16, v5
	v_and_b32_e32 v3, 0xffff, v3
	v_lshl_or_b32 v3, v5, 16, v3
	global_store_dword v[7:8], v3, off
	global_load_dword v3, v[0:1], off offset:1124
	v_lshrrev_b32_e32 v5, 16, v4
	v_add_co_u32_e32 v7, vcc, s10, v7
	v_addc_co_u32_e32 v8, vcc, v8, v2, vcc
	s_waitcnt vmcnt(0)
	v_mul_f16_sdwa v6, v5, v3 dst_sel:DWORD dst_unused:UNUSED_PAD src0_sel:DWORD src1_sel:WORD_1
	v_fma_f16 v6, v4, v3, v6
	v_mul_f16_sdwa v4, v4, v3 dst_sel:DWORD dst_unused:UNUSED_PAD src0_sel:DWORD src1_sel:WORD_1
	v_cvt_f32_f16_e32 v6, v6
	v_fma_f16 v3, v3, v5, -v4
	v_cvt_f32_f16_e32 v5, v3
	v_cvt_f64_f32_e32 v[3:4], v6
	v_cvt_f64_f32_e32 v[5:6], v5
	v_mul_f64 v[3:4], v[3:4], s[6:7]
	v_mul_f64 v[5:6], v[5:6], s[6:7]
	v_and_or_b32 v3, v4, s17, v3
	v_cmp_ne_u32_e32 vcc, 0, v3
	v_and_or_b32 v5, v6, s17, v5
	v_lshrrev_b32_e32 v9, 8, v4
	v_bfe_u32 v10, v4, 20, 11
	v_cndmask_b32_e64 v3, 0, 1, vcc
	v_cmp_ne_u32_e32 vcc, 0, v5
	v_lshrrev_b32_e32 v11, 8, v6
	v_bfe_u32 v12, v6, 20, 11
	v_sub_u32_e32 v13, 0x3f1, v10
	v_cndmask_b32_e64 v5, 0, 1, vcc
	v_and_or_b32 v3, v9, s14, v3
	v_sub_u32_e32 v14, 0x3f1, v12
	v_med3_i32 v9, v13, 0, 13
	v_and_or_b32 v5, v11, s14, v5
	v_or_b32_e32 v13, 0x1000, v3
	v_add_u32_e32 v10, 0xfffffc10, v10
	v_med3_i32 v11, v14, 0, 13
	v_cmp_ne_u32_e32 vcc, 0, v3
	v_or_b32_e32 v15, 0x1000, v5
	v_lshrrev_b32_e32 v17, v9, v13
	v_add_u32_e32 v12, 0xfffffc10, v12
	v_lshl_or_b32 v14, v10, 12, v3
	v_cndmask_b32_e64 v3, 0, 1, vcc
	v_cmp_ne_u32_e32 vcc, 0, v5
	v_lshrrev_b32_e32 v18, v11, v15
	v_lshlrev_b32_e32 v9, v9, v17
	v_lshl_or_b32 v16, v12, 12, v5
	v_cndmask_b32_e64 v5, 0, 1, vcc
	v_lshlrev_b32_e32 v11, v11, v18
	v_cmp_ne_u32_e32 vcc, v9, v13
	v_cndmask_b32_e64 v9, 0, 1, vcc
	v_cmp_ne_u32_e32 vcc, v11, v15
	v_cndmask_b32_e64 v11, 0, 1, vcc
	v_or_b32_e32 v9, v17, v9
	v_cmp_gt_i32_e32 vcc, 1, v10
	v_cndmask_b32_e32 v9, v14, v9, vcc
	v_or_b32_e32 v11, v18, v11
	v_cmp_gt_i32_e32 vcc, 1, v12
	v_and_b32_e32 v13, 7, v9
	v_cndmask_b32_e32 v11, v16, v11, vcc
	v_cmp_lt_i32_e32 vcc, 5, v13
	v_cmp_eq_u32_e64 s[0:1], 3, v13
	v_lshrrev_b32_e32 v9, 2, v9
	v_and_b32_e32 v14, 7, v11
	s_or_b64 vcc, s[0:1], vcc
	v_cmp_lt_i32_e64 s[2:3], 5, v14
	v_cmp_eq_u32_e64 s[4:5], 3, v14
	v_addc_co_u32_e32 v9, vcc, 0, v9, vcc
	v_lshrrev_b32_e32 v11, 2, v11
	s_or_b64 vcc, s[4:5], s[2:3]
	v_addc_co_u32_e32 v11, vcc, 0, v11, vcc
	v_cmp_gt_i32_e32 vcc, 31, v10
	v_cndmask_b32_e32 v9, v20, v9, vcc
	v_cmp_gt_i32_e32 vcc, 31, v12
	v_lshl_or_b32 v3, v3, 9, v20
	v_cndmask_b32_e32 v11, v20, v11, vcc
	v_cmp_eq_u32_e32 vcc, s15, v10
	v_lshrrev_b32_e32 v4, 16, v4
	v_lshl_or_b32 v5, v5, 9, v20
	v_cndmask_b32_e32 v3, v9, v3, vcc
	v_cmp_eq_u32_e32 vcc, s15, v12
	v_lshrrev_b32_e32 v6, 16, v6
	v_cndmask_b32_e32 v5, v11, v5, vcc
	v_and_or_b32 v3, v4, s16, v3
	v_and_or_b32 v4, v6, s16, v5
	v_and_b32_e32 v3, 0xffff, v3
	v_lshl_or_b32 v3, v4, 16, v3
	global_store_dword v[7:8], v3, off
	global_load_dword v5, v[0:1], off offset:2024
	v_add_u32_e32 v3, 0x1780, v109
	ds_read2_b32 v[3:4], v3 offset0:26 offset1:251
	v_add_co_u32_e32 v7, vcc, s10, v7
	v_addc_co_u32_e32 v8, vcc, v8, v2, vcc
	s_waitcnt lgkmcnt(0)
	v_lshrrev_b32_e32 v6, 16, v3
	s_waitcnt vmcnt(0)
	v_mul_f16_sdwa v9, v6, v5 dst_sel:DWORD dst_unused:UNUSED_PAD src0_sel:DWORD src1_sel:WORD_1
	v_fma_f16 v9, v3, v5, v9
	v_mul_f16_sdwa v3, v3, v5 dst_sel:DWORD dst_unused:UNUSED_PAD src0_sel:DWORD src1_sel:WORD_1
	v_cvt_f32_f16_e32 v9, v9
	v_fma_f16 v3, v5, v6, -v3
	v_cvt_f32_f16_e32 v3, v3
	v_cvt_f64_f32_e32 v[5:6], v9
	v_cvt_f64_f32_e32 v[9:10], v3
	v_mul_f64 v[5:6], v[5:6], s[6:7]
	v_mul_f64 v[9:10], v[9:10], s[6:7]
	v_and_or_b32 v3, v6, s17, v5
	v_cmp_ne_u32_e32 vcc, 0, v3
	v_and_or_b32 v9, v10, s17, v9
	v_lshrrev_b32_e32 v5, 8, v6
	v_bfe_u32 v11, v6, 20, 11
	v_cndmask_b32_e64 v3, 0, 1, vcc
	v_cmp_ne_u32_e32 vcc, 0, v9
	v_lshrrev_b32_e32 v12, 8, v10
	v_bfe_u32 v13, v10, 20, 11
	v_sub_u32_e32 v14, 0x3f1, v11
	v_cndmask_b32_e64 v9, 0, 1, vcc
	v_and_or_b32 v3, v5, s14, v3
	v_sub_u32_e32 v15, 0x3f1, v13
	v_med3_i32 v5, v14, 0, 13
	v_and_or_b32 v9, v12, s14, v9
	v_or_b32_e32 v14, 0x1000, v3
	v_add_u32_e32 v11, 0xfffffc10, v11
	v_med3_i32 v12, v15, 0, 13
	v_cmp_ne_u32_e32 vcc, 0, v3
	v_or_b32_e32 v16, 0x1000, v9
	v_lshrrev_b32_e32 v18, v5, v14
	v_add_u32_e32 v13, 0xfffffc10, v13
	v_lshl_or_b32 v15, v11, 12, v3
	v_cndmask_b32_e64 v3, 0, 1, vcc
	v_cmp_ne_u32_e32 vcc, 0, v9
	v_lshrrev_b32_e32 v19, v12, v16
	v_lshlrev_b32_e32 v5, v5, v18
	v_lshl_or_b32 v17, v13, 12, v9
	v_cndmask_b32_e64 v9, 0, 1, vcc
	v_lshlrev_b32_e32 v12, v12, v19
	v_cmp_ne_u32_e32 vcc, v5, v14
	v_cndmask_b32_e64 v5, 0, 1, vcc
	v_cmp_ne_u32_e32 vcc, v12, v16
	v_cndmask_b32_e64 v12, 0, 1, vcc
	v_or_b32_e32 v5, v18, v5
	v_cmp_gt_i32_e32 vcc, 1, v11
	v_cndmask_b32_e32 v5, v15, v5, vcc
	v_or_b32_e32 v12, v19, v12
	v_cmp_gt_i32_e32 vcc, 1, v13
	v_and_b32_e32 v14, 7, v5
	v_cndmask_b32_e32 v12, v17, v12, vcc
	v_cmp_lt_i32_e32 vcc, 5, v14
	v_cmp_eq_u32_e64 s[0:1], 3, v14
	v_lshrrev_b32_e32 v5, 2, v5
	v_and_b32_e32 v15, 7, v12
	s_or_b64 vcc, s[0:1], vcc
	v_cmp_lt_i32_e64 s[2:3], 5, v15
	v_cmp_eq_u32_e64 s[4:5], 3, v15
	v_addc_co_u32_e32 v5, vcc, 0, v5, vcc
	v_lshrrev_b32_e32 v12, 2, v12
	s_or_b64 vcc, s[4:5], s[2:3]
	v_addc_co_u32_e32 v12, vcc, 0, v12, vcc
	v_cmp_gt_i32_e32 vcc, 31, v11
	v_cndmask_b32_e32 v5, v20, v5, vcc
	v_cmp_gt_i32_e32 vcc, 31, v13
	v_lshl_or_b32 v3, v3, 9, v20
	v_cndmask_b32_e32 v12, v20, v12, vcc
	v_cmp_eq_u32_e32 vcc, s15, v11
	v_lshrrev_b32_e32 v6, 16, v6
	v_lshl_or_b32 v9, v9, 9, v20
	v_cndmask_b32_e32 v3, v5, v3, vcc
	v_cmp_eq_u32_e32 vcc, s15, v13
	v_lshrrev_b32_e32 v10, 16, v10
	v_cndmask_b32_e32 v5, v12, v9, vcc
	v_and_or_b32 v3, v6, s16, v3
	v_and_or_b32 v5, v10, s16, v5
	v_and_b32_e32 v3, 0xffff, v3
	v_lshl_or_b32 v3, v5, 16, v3
	global_store_dword v[7:8], v3, off
	global_load_dword v3, v[0:1], off offset:2924
	v_lshrrev_b32_e32 v5, 16, v4
	v_add_co_u32_e32 v7, vcc, s10, v7
	v_addc_co_u32_e32 v8, vcc, v8, v2, vcc
	s_waitcnt vmcnt(0)
	v_mul_f16_sdwa v6, v5, v3 dst_sel:DWORD dst_unused:UNUSED_PAD src0_sel:DWORD src1_sel:WORD_1
	v_fma_f16 v6, v4, v3, v6
	v_mul_f16_sdwa v4, v4, v3 dst_sel:DWORD dst_unused:UNUSED_PAD src0_sel:DWORD src1_sel:WORD_1
	v_cvt_f32_f16_e32 v6, v6
	v_fma_f16 v3, v3, v5, -v4
	v_cvt_f32_f16_e32 v5, v3
	v_cvt_f64_f32_e32 v[3:4], v6
	v_cvt_f64_f32_e32 v[5:6], v5
	v_mul_f64 v[3:4], v[3:4], s[6:7]
	v_mul_f64 v[5:6], v[5:6], s[6:7]
	v_and_or_b32 v3, v4, s17, v3
	v_cmp_ne_u32_e32 vcc, 0, v3
	v_and_or_b32 v5, v6, s17, v5
	v_lshrrev_b32_e32 v9, 8, v4
	v_bfe_u32 v10, v4, 20, 11
	v_cndmask_b32_e64 v3, 0, 1, vcc
	v_cmp_ne_u32_e32 vcc, 0, v5
	v_lshrrev_b32_e32 v11, 8, v6
	v_bfe_u32 v12, v6, 20, 11
	v_sub_u32_e32 v13, 0x3f1, v10
	v_cndmask_b32_e64 v5, 0, 1, vcc
	v_and_or_b32 v3, v9, s14, v3
	v_sub_u32_e32 v14, 0x3f1, v12
	v_med3_i32 v9, v13, 0, 13
	v_and_or_b32 v5, v11, s14, v5
	v_or_b32_e32 v13, 0x1000, v3
	v_add_u32_e32 v10, 0xfffffc10, v10
	v_med3_i32 v11, v14, 0, 13
	v_cmp_ne_u32_e32 vcc, 0, v3
	v_or_b32_e32 v15, 0x1000, v5
	v_lshrrev_b32_e32 v17, v9, v13
	v_add_u32_e32 v12, 0xfffffc10, v12
	v_lshl_or_b32 v14, v10, 12, v3
	v_cndmask_b32_e64 v3, 0, 1, vcc
	v_cmp_ne_u32_e32 vcc, 0, v5
	v_lshrrev_b32_e32 v18, v11, v15
	v_lshlrev_b32_e32 v9, v9, v17
	v_lshl_or_b32 v16, v12, 12, v5
	v_cndmask_b32_e64 v5, 0, 1, vcc
	v_lshlrev_b32_e32 v11, v11, v18
	v_cmp_ne_u32_e32 vcc, v9, v13
	v_cndmask_b32_e64 v9, 0, 1, vcc
	v_cmp_ne_u32_e32 vcc, v11, v15
	v_cndmask_b32_e64 v11, 0, 1, vcc
	v_or_b32_e32 v9, v17, v9
	v_cmp_gt_i32_e32 vcc, 1, v10
	v_cndmask_b32_e32 v9, v14, v9, vcc
	v_or_b32_e32 v11, v18, v11
	v_cmp_gt_i32_e32 vcc, 1, v12
	v_and_b32_e32 v13, 7, v9
	v_cndmask_b32_e32 v11, v16, v11, vcc
	v_cmp_lt_i32_e32 vcc, 5, v13
	v_cmp_eq_u32_e64 s[0:1], 3, v13
	v_lshrrev_b32_e32 v9, 2, v9
	v_and_b32_e32 v14, 7, v11
	s_or_b64 vcc, s[0:1], vcc
	v_cmp_lt_i32_e64 s[2:3], 5, v14
	v_cmp_eq_u32_e64 s[4:5], 3, v14
	v_addc_co_u32_e32 v9, vcc, 0, v9, vcc
	v_lshrrev_b32_e32 v11, 2, v11
	s_or_b64 vcc, s[4:5], s[2:3]
	v_addc_co_u32_e32 v11, vcc, 0, v11, vcc
	v_cmp_gt_i32_e32 vcc, 31, v10
	v_cndmask_b32_e32 v9, v20, v9, vcc
	v_cmp_gt_i32_e32 vcc, 31, v12
	v_lshl_or_b32 v3, v3, 9, v20
	v_cndmask_b32_e32 v11, v20, v11, vcc
	v_cmp_eq_u32_e32 vcc, s15, v10
	v_lshrrev_b32_e32 v4, 16, v4
	v_lshl_or_b32 v5, v5, 9, v20
	v_cndmask_b32_e32 v3, v9, v3, vcc
	v_cmp_eq_u32_e32 vcc, s15, v12
	v_lshrrev_b32_e32 v6, 16, v6
	v_cndmask_b32_e32 v5, v11, v5, vcc
	v_and_or_b32 v3, v4, s16, v3
	v_and_or_b32 v4, v6, s16, v5
	v_and_b32_e32 v3, 0xffff, v3
	v_lshl_or_b32 v3, v4, 16, v3
	global_store_dword v[7:8], v3, off
	global_load_dword v3, v[0:1], off offset:3824
	v_add_u32_e32 v0, 0x1e80, v109
	ds_read2_b32 v[0:1], v0 offset0:28 offset1:253
	s_movk_i32 s0, 0x2000
	v_add_co_u32_e32 v9, vcc, s0, v40
	v_addc_co_u32_e32 v10, vcc, 0, v41, vcc
	s_waitcnt lgkmcnt(0)
	v_lshrrev_b32_e32 v4, 16, v0
	v_add_co_u32_e32 v7, vcc, s10, v7
	v_addc_co_u32_e32 v8, vcc, v8, v2, vcc
	s_waitcnt vmcnt(0)
	v_mul_f16_sdwa v5, v4, v3 dst_sel:DWORD dst_unused:UNUSED_PAD src0_sel:DWORD src1_sel:WORD_1
	v_fma_f16 v5, v0, v3, v5
	v_mul_f16_sdwa v0, v0, v3 dst_sel:DWORD dst_unused:UNUSED_PAD src0_sel:DWORD src1_sel:WORD_1
	v_cvt_f32_f16_e32 v5, v5
	v_fma_f16 v0, v3, v4, -v0
	v_cvt_f32_f16_e32 v0, v0
	v_cvt_f64_f32_e32 v[3:4], v5
	v_cvt_f64_f32_e32 v[5:6], v0
	v_mul_f64 v[3:4], v[3:4], s[6:7]
	v_mul_f64 v[5:6], v[5:6], s[6:7]
	v_and_or_b32 v0, v4, s17, v3
	v_cmp_ne_u32_e32 vcc, 0, v0
	v_and_or_b32 v5, v6, s17, v5
	v_lshrrev_b32_e32 v3, 8, v4
	v_bfe_u32 v11, v4, 20, 11
	v_cndmask_b32_e64 v0, 0, 1, vcc
	v_cmp_ne_u32_e32 vcc, 0, v5
	v_lshrrev_b32_e32 v12, 8, v6
	v_bfe_u32 v13, v6, 20, 11
	v_sub_u32_e32 v14, 0x3f1, v11
	v_cndmask_b32_e64 v5, 0, 1, vcc
	v_and_or_b32 v0, v3, s14, v0
	v_sub_u32_e32 v15, 0x3f1, v13
	v_med3_i32 v3, v14, 0, 13
	v_and_or_b32 v5, v12, s14, v5
	v_or_b32_e32 v14, 0x1000, v0
	v_add_u32_e32 v11, 0xfffffc10, v11
	v_med3_i32 v12, v15, 0, 13
	v_cmp_ne_u32_e32 vcc, 0, v0
	v_or_b32_e32 v16, 0x1000, v5
	v_lshrrev_b32_e32 v18, v3, v14
	v_add_u32_e32 v13, 0xfffffc10, v13
	v_lshl_or_b32 v15, v11, 12, v0
	v_cndmask_b32_e64 v0, 0, 1, vcc
	v_cmp_ne_u32_e32 vcc, 0, v5
	v_lshrrev_b32_e32 v19, v12, v16
	v_lshlrev_b32_e32 v3, v3, v18
	v_lshl_or_b32 v17, v13, 12, v5
	v_cndmask_b32_e64 v5, 0, 1, vcc
	v_lshlrev_b32_e32 v12, v12, v19
	v_cmp_ne_u32_e32 vcc, v3, v14
	v_cndmask_b32_e64 v3, 0, 1, vcc
	v_cmp_ne_u32_e32 vcc, v12, v16
	v_cndmask_b32_e64 v12, 0, 1, vcc
	v_or_b32_e32 v3, v18, v3
	v_cmp_gt_i32_e32 vcc, 1, v11
	v_cndmask_b32_e32 v3, v15, v3, vcc
	v_or_b32_e32 v12, v19, v12
	v_cmp_gt_i32_e32 vcc, 1, v13
	v_and_b32_e32 v14, 7, v3
	v_cndmask_b32_e32 v12, v17, v12, vcc
	v_cmp_lt_i32_e32 vcc, 5, v14
	v_cmp_eq_u32_e64 s[0:1], 3, v14
	v_lshrrev_b32_e32 v3, 2, v3
	v_and_b32_e32 v15, 7, v12
	s_or_b64 vcc, s[0:1], vcc
	v_cmp_lt_i32_e64 s[2:3], 5, v15
	v_cmp_eq_u32_e64 s[4:5], 3, v15
	v_addc_co_u32_e32 v3, vcc, 0, v3, vcc
	v_lshrrev_b32_e32 v12, 2, v12
	s_or_b64 vcc, s[4:5], s[2:3]
	v_addc_co_u32_e32 v12, vcc, 0, v12, vcc
	v_cmp_gt_i32_e32 vcc, 31, v11
	v_cndmask_b32_e32 v3, v20, v3, vcc
	v_cmp_gt_i32_e32 vcc, 31, v13
	v_lshl_or_b32 v0, v0, 9, v20
	v_cndmask_b32_e32 v12, v20, v12, vcc
	v_cmp_eq_u32_e32 vcc, s15, v11
	v_lshrrev_b32_e32 v4, 16, v4
	v_lshl_or_b32 v5, v5, 9, v20
	v_cndmask_b32_e32 v0, v3, v0, vcc
	v_cmp_eq_u32_e32 vcc, s15, v13
	v_lshrrev_b32_e32 v6, 16, v6
	v_cndmask_b32_e32 v3, v12, v5, vcc
	v_and_or_b32 v0, v4, s16, v0
	v_and_or_b32 v3, v6, s16, v3
	v_and_b32_e32 v0, 0xffff, v0
	v_lshl_or_b32 v0, v3, 16, v0
	global_store_dword v[7:8], v0, off
	global_load_dword v0, v[9:10], off offset:628
	v_lshrrev_b32_e32 v3, 16, v1
	s_waitcnt vmcnt(0)
	v_mul_f16_sdwa v4, v3, v0 dst_sel:DWORD dst_unused:UNUSED_PAD src0_sel:DWORD src1_sel:WORD_1
	v_fma_f16 v4, v1, v0, v4
	v_mul_f16_sdwa v1, v1, v0 dst_sel:DWORD dst_unused:UNUSED_PAD src0_sel:DWORD src1_sel:WORD_1
	v_cvt_f32_f16_e32 v4, v4
	v_fma_f16 v0, v0, v3, -v1
	v_cvt_f32_f16_e32 v3, v0
	v_cvt_f64_f32_e32 v[0:1], v4
	v_cvt_f64_f32_e32 v[3:4], v3
	v_mul_f64 v[0:1], v[0:1], s[6:7]
	v_mul_f64 v[3:4], v[3:4], s[6:7]
	v_and_or_b32 v0, v1, s17, v0
	v_cmp_ne_u32_e32 vcc, 0, v0
	v_and_or_b32 v3, v4, s17, v3
	v_lshrrev_b32_e32 v5, 8, v1
	v_bfe_u32 v6, v1, 20, 11
	v_cndmask_b32_e64 v0, 0, 1, vcc
	v_cmp_ne_u32_e32 vcc, 0, v3
	v_lshrrev_b32_e32 v9, 8, v4
	v_bfe_u32 v10, v4, 20, 11
	v_sub_u32_e32 v11, 0x3f1, v6
	v_cndmask_b32_e64 v3, 0, 1, vcc
	v_and_or_b32 v0, v5, s14, v0
	v_sub_u32_e32 v12, 0x3f1, v10
	v_med3_i32 v5, v11, 0, 13
	v_and_or_b32 v3, v9, s14, v3
	v_or_b32_e32 v11, 0x1000, v0
	v_add_u32_e32 v6, 0xfffffc10, v6
	v_med3_i32 v9, v12, 0, 13
	v_cmp_ne_u32_e32 vcc, 0, v0
	v_or_b32_e32 v13, 0x1000, v3
	v_lshrrev_b32_e32 v15, v5, v11
	v_add_u32_e32 v10, 0xfffffc10, v10
	v_lshl_or_b32 v12, v6, 12, v0
	v_cndmask_b32_e64 v0, 0, 1, vcc
	v_cmp_ne_u32_e32 vcc, 0, v3
	v_lshrrev_b32_e32 v16, v9, v13
	v_lshlrev_b32_e32 v5, v5, v15
	v_lshl_or_b32 v14, v10, 12, v3
	v_cndmask_b32_e64 v3, 0, 1, vcc
	v_lshlrev_b32_e32 v9, v9, v16
	v_cmp_ne_u32_e32 vcc, v5, v11
	v_cndmask_b32_e64 v5, 0, 1, vcc
	v_cmp_ne_u32_e32 vcc, v9, v13
	v_cndmask_b32_e64 v9, 0, 1, vcc
	v_or_b32_e32 v5, v15, v5
	v_cmp_gt_i32_e32 vcc, 1, v6
	v_cndmask_b32_e32 v5, v12, v5, vcc
	v_or_b32_e32 v9, v16, v9
	v_cmp_gt_i32_e32 vcc, 1, v10
	v_and_b32_e32 v11, 7, v5
	v_cndmask_b32_e32 v9, v14, v9, vcc
	v_cmp_lt_i32_e32 vcc, 5, v11
	v_cmp_eq_u32_e64 s[0:1], 3, v11
	v_lshrrev_b32_e32 v5, 2, v5
	v_and_b32_e32 v12, 7, v9
	s_or_b64 vcc, s[0:1], vcc
	v_cmp_lt_i32_e64 s[2:3], 5, v12
	v_cmp_eq_u32_e64 s[4:5], 3, v12
	v_addc_co_u32_e32 v5, vcc, 0, v5, vcc
	v_lshrrev_b32_e32 v9, 2, v9
	s_or_b64 vcc, s[4:5], s[2:3]
	v_addc_co_u32_e32 v9, vcc, 0, v9, vcc
	v_cmp_gt_i32_e32 vcc, 31, v6
	v_cndmask_b32_e32 v5, v20, v5, vcc
	v_cmp_gt_i32_e32 vcc, 31, v10
	v_lshl_or_b32 v0, v0, 9, v20
	v_cndmask_b32_e32 v9, v20, v9, vcc
	v_cmp_eq_u32_e32 vcc, s15, v6
	v_lshrrev_b32_e32 v1, 16, v1
	v_lshl_or_b32 v3, v3, 9, v20
	v_cndmask_b32_e32 v0, v5, v0, vcc
	v_cmp_eq_u32_e32 vcc, s15, v10
	v_lshrrev_b32_e32 v4, 16, v4
	v_cndmask_b32_e32 v3, v9, v3, vcc
	v_and_or_b32 v0, v1, s16, v0
	v_and_or_b32 v1, v4, s16, v3
	v_and_b32_e32 v0, 0xffff, v0
	v_lshl_or_b32 v3, v1, 16, v0
	v_add_co_u32_e32 v0, vcc, s10, v7
	v_addc_co_u32_e32 v1, vcc, v8, v2, vcc
	global_store_dword v[0:1], v3, off
.LBB0_31:
	s_endpgm
	.section	.rodata,"a",@progbits
	.p2align	6, 0x0
	.amdhsa_kernel bluestein_single_back_len2250_dim1_half_op_CI_CI
		.amdhsa_group_segment_fixed_size 9000
		.amdhsa_private_segment_fixed_size 0
		.amdhsa_kernarg_size 104
		.amdhsa_user_sgpr_count 6
		.amdhsa_user_sgpr_private_segment_buffer 1
		.amdhsa_user_sgpr_dispatch_ptr 0
		.amdhsa_user_sgpr_queue_ptr 0
		.amdhsa_user_sgpr_kernarg_segment_ptr 1
		.amdhsa_user_sgpr_dispatch_id 0
		.amdhsa_user_sgpr_flat_scratch_init 0
		.amdhsa_user_sgpr_private_segment_size 0
		.amdhsa_uses_dynamic_stack 0
		.amdhsa_system_sgpr_private_segment_wavefront_offset 0
		.amdhsa_system_sgpr_workgroup_id_x 1
		.amdhsa_system_sgpr_workgroup_id_y 0
		.amdhsa_system_sgpr_workgroup_id_z 0
		.amdhsa_system_sgpr_workgroup_info 0
		.amdhsa_system_vgpr_workitem_id 0
		.amdhsa_next_free_vgpr 220
		.amdhsa_next_free_sgpr 21
		.amdhsa_reserve_vcc 1
		.amdhsa_reserve_flat_scratch 0
		.amdhsa_float_round_mode_32 0
		.amdhsa_float_round_mode_16_64 0
		.amdhsa_float_denorm_mode_32 3
		.amdhsa_float_denorm_mode_16_64 3
		.amdhsa_dx10_clamp 1
		.amdhsa_ieee_mode 1
		.amdhsa_fp16_overflow 0
		.amdhsa_exception_fp_ieee_invalid_op 0
		.amdhsa_exception_fp_denorm_src 0
		.amdhsa_exception_fp_ieee_div_zero 0
		.amdhsa_exception_fp_ieee_overflow 0
		.amdhsa_exception_fp_ieee_underflow 0
		.amdhsa_exception_fp_ieee_inexact 0
		.amdhsa_exception_int_div_zero 0
	.end_amdhsa_kernel
	.text
.Lfunc_end0:
	.size	bluestein_single_back_len2250_dim1_half_op_CI_CI, .Lfunc_end0-bluestein_single_back_len2250_dim1_half_op_CI_CI
                                        ; -- End function
	.section	.AMDGPU.csdata,"",@progbits
; Kernel info:
; codeLenInByte = 48524
; NumSgprs: 25
; NumVgprs: 220
; ScratchSize: 0
; MemoryBound: 0
; FloatMode: 240
; IeeeMode: 1
; LDSByteSize: 9000 bytes/workgroup (compile time only)
; SGPRBlocks: 3
; VGPRBlocks: 54
; NumSGPRsForWavesPerEU: 25
; NumVGPRsForWavesPerEU: 220
; Occupancy: 1
; WaveLimiterHint : 1
; COMPUTE_PGM_RSRC2:SCRATCH_EN: 0
; COMPUTE_PGM_RSRC2:USER_SGPR: 6
; COMPUTE_PGM_RSRC2:TRAP_HANDLER: 0
; COMPUTE_PGM_RSRC2:TGID_X_EN: 1
; COMPUTE_PGM_RSRC2:TGID_Y_EN: 0
; COMPUTE_PGM_RSRC2:TGID_Z_EN: 0
; COMPUTE_PGM_RSRC2:TIDIG_COMP_CNT: 0
	.type	__hip_cuid_3a1311413ee5c539,@object ; @__hip_cuid_3a1311413ee5c539
	.section	.bss,"aw",@nobits
	.globl	__hip_cuid_3a1311413ee5c539
__hip_cuid_3a1311413ee5c539:
	.byte	0                               ; 0x0
	.size	__hip_cuid_3a1311413ee5c539, 1

	.ident	"AMD clang version 19.0.0git (https://github.com/RadeonOpenCompute/llvm-project roc-6.4.0 25133 c7fe45cf4b819c5991fe208aaa96edf142730f1d)"
	.section	".note.GNU-stack","",@progbits
	.addrsig
	.addrsig_sym __hip_cuid_3a1311413ee5c539
	.amdgpu_metadata
---
amdhsa.kernels:
  - .args:
      - .actual_access:  read_only
        .address_space:  global
        .offset:         0
        .size:           8
        .value_kind:     global_buffer
      - .actual_access:  read_only
        .address_space:  global
        .offset:         8
        .size:           8
        .value_kind:     global_buffer
      - .actual_access:  read_only
        .address_space:  global
        .offset:         16
        .size:           8
        .value_kind:     global_buffer
      - .actual_access:  read_only
        .address_space:  global
        .offset:         24
        .size:           8
        .value_kind:     global_buffer
      - .actual_access:  read_only
        .address_space:  global
        .offset:         32
        .size:           8
        .value_kind:     global_buffer
      - .offset:         40
        .size:           8
        .value_kind:     by_value
      - .address_space:  global
        .offset:         48
        .size:           8
        .value_kind:     global_buffer
      - .address_space:  global
        .offset:         56
        .size:           8
        .value_kind:     global_buffer
      - .address_space:  global
        .offset:         64
        .size:           8
        .value_kind:     global_buffer
      - .address_space:  global
        .offset:         72
        .size:           8
        .value_kind:     global_buffer
      - .offset:         80
        .size:           4
        .value_kind:     by_value
      - .address_space:  global
        .offset:         88
        .size:           8
        .value_kind:     global_buffer
      - .address_space:  global
        .offset:         96
        .size:           8
        .value_kind:     global_buffer
    .group_segment_fixed_size: 9000
    .kernarg_segment_align: 8
    .kernarg_segment_size: 104
    .language:       OpenCL C
    .language_version:
      - 2
      - 0
    .max_flat_workgroup_size: 90
    .name:           bluestein_single_back_len2250_dim1_half_op_CI_CI
    .private_segment_fixed_size: 0
    .sgpr_count:     25
    .sgpr_spill_count: 0
    .symbol:         bluestein_single_back_len2250_dim1_half_op_CI_CI.kd
    .uniform_work_group_size: 1
    .uses_dynamic_stack: false
    .vgpr_count:     220
    .vgpr_spill_count: 0
    .wavefront_size: 64
amdhsa.target:   amdgcn-amd-amdhsa--gfx906
amdhsa.version:
  - 1
  - 2
...

	.end_amdgpu_metadata
